;; amdgpu-corpus repo=ROCm/vllm kind=compiled arch=gfx1100 opt=O3
	.text
	.amdgcn_target "amdgcn-amd-amdhsa--gfx1100"
	.amdhsa_code_object_version 6
	.protected	_Z37convert_vertical_slash_indexes_kernelPKiS0_S0_S0_PiS1_S1_S1_llllllb ; -- Begin function _Z37convert_vertical_slash_indexes_kernelPKiS0_S0_S0_PiS1_S1_S1_llllllb
	.globl	_Z37convert_vertical_slash_indexes_kernelPKiS0_S0_S0_PiS1_S1_S1_llllllb
	.p2align	8
	.type	_Z37convert_vertical_slash_indexes_kernelPKiS0_S0_S0_PiS1_S1_S1_llllllb,@function
_Z37convert_vertical_slash_indexes_kernelPKiS0_S0_S0_PiS1_S1_S1_llllllb: ; @_Z37convert_vertical_slash_indexes_kernelPKiS0_S0_S0_PiS1_S1_S1_llllllb
; %bb.0:
	s_clause 0x2
	s_load_b512 s[16:31], s[0:1], 0x0
	s_load_b32 s3, s[0:1], 0x84
	s_load_b256 s[4:11], s[0:1], 0x40
	s_mov_b32 s2, s15
	s_ashr_i32 s15, s14, 31
	s_delay_alu instid0(SALU_CYCLE_1)
	s_lshl_b64 s[36:37], s[14:15], 2
	s_waitcnt lgkmcnt(0)
	s_add_u32 s16, s16, s36
	s_addc_u32 s17, s17, s37
	s_and_b32 s3, s3, 0xffff
	s_load_b32 s34, s[16:17], 0x0
	v_mad_u64_u32 v[4:5], null, s2, s3, v[0:1]
	s_mov_b32 s2, exec_lo
	s_delay_alu instid0(VALU_DEP_1) | instskip(NEXT) | instid1(VALU_DEP_1)
	v_mad_u64_u32 v[0:1], null, v4, s8, 0
	v_mad_u64_u32 v[2:3], null, v4, s9, v[1:2]
	s_waitcnt lgkmcnt(0)
	s_ashr_i32 s35, s34, 31
	s_delay_alu instid0(VALU_DEP_1) | instskip(NEXT) | instid1(VALU_DEP_1)
	v_mov_b32_e32 v1, v2
	v_cmpx_gt_i64_e64 s[34:35], v[0:1]
	s_cbranch_execz .LBB0_84
; %bb.1:
	s_load_b32 s2, s[0:1], 0x70
	v_add_co_u32 v12, vcc_lo, v0, s8
	v_add_co_ci_u32_e32 v13, vcc_lo, s9, v1, vcc_lo
	s_waitcnt lgkmcnt(0)
	s_bitcmp1_b32 s2, 0
	s_cselect_b32 s33, -1, 0
	s_add_u32 s2, s18, s36
	s_addc_u32 s3, s19, s37
	s_load_b32 s2, s[2:3], 0x0
	s_load_b128 s[16:19], s[0:1], 0x60
	s_mul_i32 s0, s14, s5
	s_mul_hi_u32 s1, s14, s4
	s_mul_i32 s3, s15, s4
	s_add_i32 s0, s1, s0
	s_mul_i32 s4, s14, s4
	s_ashr_i32 s1, s13, 31
	s_add_i32 s0, s0, s3
	s_waitcnt lgkmcnt(0)
	s_ashr_i32 s3, s2, 31
	s_add_u32 s39, s4, s13
	s_addc_u32 s40, s0, s1
	s_mul_i32 s1, s39, s17
	s_mul_hi_u32 s4, s39, s16
	s_mul_i32 s5, s40, s16
	s_add_i32 s1, s4, s1
	s_mul_i32 s0, s39, s16
	s_add_i32 s1, s1, s5
	s_mul_i32 s12, s39, s19
	s_lshl_b64 s[0:1], s[0:1], 2
	s_mul_hi_u32 s13, s39, s18
	s_add_u32 s4, s20, s0
	s_mul_i32 s14, s40, s18
	s_addc_u32 s5, s21, s1
	s_add_i32 s1, s13, s12
	s_mul_i32 s0, s39, s18
	s_add_i32 s1, s1, s14
	v_cmp_gt_i64_e64 s36, s[18:19], 1
	s_lshl_b64 s[0:1], s[0:1], 2
	s_mov_b32 s20, -1
	s_add_u32 s12, s22, s0
	s_addc_u32 s13, s23, s1
	s_load_b32 s14, s[12:13], 0x0
	s_load_b32 s38, s[4:5], 0x0
	s_and_b32 vcc_lo, exec_lo, s33
	s_waitcnt lgkmcnt(0)
	s_ashr_i32 s15, s14, 31
	s_cbranch_vccnz .LBB0_7
; %bb.2:
	v_add_co_u32 v2, vcc_lo, v12, s2
	v_add_co_ci_u32_e32 v3, vcc_lo, s3, v13, vcc_lo
	v_dual_mov_b32 v30, 1 :: v_dual_mov_b32 v5, s14
	v_dual_mov_b32 v31, 0 :: v_dual_mov_b32 v6, s15
	s_delay_alu instid0(VALU_DEP_3) | instskip(SKIP_2) | instid1(SALU_CYCLE_1)
	v_cmp_ge_i64_e32 vcc_lo, s[14:15], v[2:3]
	s_mov_b64 s[20:21], 1
	s_and_b32 s36, vcc_lo, s36
	s_and_saveexec_b32 s41, s36
	s_cbranch_execz .LBB0_6
; %bb.3:
	s_add_u32 s36, s0, s22
	s_addc_u32 s37, s1, s23
	s_add_u32 s36, s36, 4
	s_addc_u32 s37, s37, 0
	s_mov_b32 s42, 0
	.p2align	6
.LBB0_4:                                ; =>This Inner Loop Header: Depth=1
	s_load_b32 s44, s[36:37], 0x0
	s_add_u32 s20, s20, 1
	s_addc_u32 s21, s21, 0
	s_delay_alu instid0(SALU_CYCLE_1) | instskip(SKIP_3) | instid1(SALU_CYCLE_1)
	v_cmp_ge_i64_e64 s43, s[20:21], s[18:19]
	v_dual_mov_b32 v31, s21 :: v_dual_mov_b32 v30, s20
	s_waitcnt lgkmcnt(0)
	s_ashr_i32 s45, s44, 31
	v_dual_mov_b32 v5, s44 :: v_dual_mov_b32 v6, s45
	v_cmp_lt_i64_e32 vcc_lo, s[44:45], v[2:3]
	s_or_b32 s43, vcc_lo, s43
	s_add_u32 s36, s36, 4
	s_addc_u32 s37, s37, 0
	s_and_b32 s43, exec_lo, s43
	s_delay_alu instid0(SALU_CYCLE_1) | instskip(NEXT) | instid1(SALU_CYCLE_1)
	s_or_b32 s42, s43, s42
	s_and_not1_b32 exec_lo, exec_lo, s42
	s_cbranch_execnz .LBB0_4
; %bb.5:
	s_or_b32 exec_lo, exec_lo, s42
.LBB0_6:
	s_delay_alu instid0(SALU_CYCLE_1)
	s_or_b32 exec_lo, exec_lo, s41
	v_cmp_ge_i64_e64 s21, v[2:3], v[5:6]
	v_sub_co_u32 v2, vcc_lo, v2, v5
	v_sub_co_ci_u32_e32 v3, vcc_lo, v3, v6, vcc_lo
	v_mov_b32_e32 v5, 0
	s_branch .LBB0_13
.LBB0_7:
                                        ; implicit-def: $sgpr21
                                        ; implicit-def: $vgpr30_vgpr31
                                        ; implicit-def: $vgpr2_vgpr3
	v_mov_b32_e32 v5, 0
	s_and_b32 vcc_lo, exec_lo, s20
	s_cbranch_vccz .LBB0_13
; %bb.8:
	s_sub_u32 s20, s2, s34
	s_subb_u32 s21, s3, s35
	v_add_co_u32 v2, vcc_lo, v12, s20
	v_add_co_ci_u32_e32 v3, vcc_lo, s21, v13, vcc_lo
	v_cmp_gt_i64_e64 s20, s[18:19], 1
	v_mov_b32_e32 v30, 1
	v_dual_mov_b32 v31, 0 :: v_dual_mov_b32 v6, s14
	s_delay_alu instid0(VALU_DEP_4) | instskip(SKIP_3) | instid1(SALU_CYCLE_1)
	v_cmp_ge_i64_e32 vcc_lo, s[14:15], v[2:3]
	v_mov_b32_e32 v7, s15
	s_mov_b64 s[14:15], 1
	s_and_b32 s21, vcc_lo, s20
	s_and_saveexec_b32 s20, s21
	s_cbranch_execz .LBB0_12
; %bb.9:
	s_add_u32 s0, s0, s22
	s_addc_u32 s1, s1, s23
	s_add_u32 s0, s0, 4
	s_addc_u32 s1, s1, 0
	s_mov_b32 s21, 0
	.p2align	6
.LBB0_10:                               ; =>This Inner Loop Header: Depth=1
	s_load_b32 s22, s[0:1], 0x0
	s_add_u32 s14, s14, 1
	s_addc_u32 s15, s15, 0
	s_delay_alu instid0(SALU_CYCLE_1) | instskip(SKIP_3) | instid1(SALU_CYCLE_1)
	v_cmp_ge_i64_e64 s36, s[14:15], s[18:19]
	v_dual_mov_b32 v31, s15 :: v_dual_mov_b32 v30, s14
	s_waitcnt lgkmcnt(0)
	s_ashr_i32 s23, s22, 31
	v_dual_mov_b32 v6, s22 :: v_dual_mov_b32 v7, s23
	v_cmp_lt_i64_e32 vcc_lo, s[22:23], v[2:3]
	s_or_b32 s22, vcc_lo, s36
	s_add_u32 s0, s0, 4
	s_addc_u32 s1, s1, 0
	s_and_b32 s22, exec_lo, s22
	s_delay_alu instid0(SALU_CYCLE_1) | instskip(NEXT) | instid1(SALU_CYCLE_1)
	s_or_b32 s21, s22, s21
	s_and_not1_b32 exec_lo, exec_lo, s21
	s_cbranch_execnz .LBB0_10
; %bb.11:
	s_or_b32 exec_lo, exec_lo, s21
.LBB0_12:
	s_delay_alu instid0(SALU_CYCLE_1)
	s_or_b32 exec_lo, exec_lo, s20
	v_cmp_ge_i64_e64 s21, v[2:3], v[6:7]
	v_sub_co_u32 v2, vcc_lo, v2, v6
	v_sub_co_ci_u32_e32 v3, vcc_lo, v3, v7, vcc_lo
.LBB0_13:
	s_delay_alu instid0(VALU_DEP_1)
	v_cmp_lt_i64_e32 vcc_lo, s[8:9], v[2:3]
	s_xor_b32 s20, s33, -1
	s_mov_b32 s15, -1
	s_xor_b32 s0, s21, -1
	v_cndmask_b32_e32 v38, s8, v2, vcc_lo
	v_cndmask_b32_e32 v39, s9, v3, vcc_lo
	s_delay_alu instid0(VALU_DEP_2) | instskip(NEXT) | instid1(VALU_DEP_2)
	v_sub_co_u32 v40, vcc_lo, v38, s8
	v_subrev_co_ci_u32_e32 v41, vcc_lo, s9, v39, vcc_lo
	v_dual_mov_b32 v43, v39 :: v_dual_mov_b32 v42, v38
	s_and_saveexec_b32 s14, s0
	s_cbranch_execz .LBB0_18
; %bb.14:
	s_and_b32 vcc_lo, exec_lo, s20
                                        ; implicit-def: $sgpr0_sgpr1
	s_cbranch_vccz .LBB0_16
; %bb.15:
	s_add_u32 s0, s2, s10
	s_addc_u32 s1, s3, s11
	s_mov_b32 s15, 0
.LBB0_16:
	v_dual_mov_b32 v43, s1 :: v_dual_mov_b32 v42, s0
	v_dual_mov_b32 v41, s3 :: v_dual_mov_b32 v40, s2
	s_and_not1_b32 vcc_lo, exec_lo, s15
	s_cbranch_vccnz .LBB0_18
; %bb.17:
	s_sub_u32 s0, s2, s34
	s_subb_u32 s1, s3, s35
	v_add_co_u32 v40, vcc_lo, v12, s0
	v_add_co_ci_u32_e32 v41, vcc_lo, s1, v13, vcc_lo
	s_delay_alu instid0(VALU_DEP_2) | instskip(NEXT) | instid1(VALU_DEP_2)
	v_add_co_u32 v42, vcc_lo, v40, s10
	v_add_co_ci_u32_e32 v43, vcc_lo, s11, v41, vcc_lo
.LBB0_18:
	s_or_b32 exec_lo, exec_lo, s14
	v_mad_u64_u32 v[2:3], null, s39, s6, v[4:5]
	s_mul_i32 s40, s40, s6
	s_mul_i32 s39, s39, s7
	v_add_co_u32 v62, vcc_lo, v12, s2
	s_sub_u32 s0, s2, s34
	v_add_co_ci_u32_e32 v63, vcc_lo, s3, v13, vcc_lo
	s_delay_alu instid0(VALU_DEP_3) | instskip(NEXT) | instid1(VALU_DEP_4)
	v_add3_u32 v3, s39, s40, v3
	v_mul_lo_u32 v6, v2, s17
	v_mad_u64_u32 v[4:5], null, v2, s16, 0
	v_mul_lo_u32 v14, s19, v2
	s_delay_alu instid0(VALU_DEP_4)
	v_mul_lo_u32 v7, v3, s16
	v_mul_lo_u32 v15, s18, v3
	s_subb_u32 s1, s3, s35
	v_add_co_u32 v8, vcc_lo, s0, v12
	s_add_u32 s6, s2, s10
	v_add_co_ci_u32_e32 v9, vcc_lo, s1, v13, vcc_lo
	s_delay_alu instid0(VALU_DEP_4) | instskip(SKIP_3) | instid1(VALU_DEP_2)
	v_add3_u32 v5, v5, v6, v7
	v_mad_u64_u32 v[6:7], null, s18, v2, 0
	s_addc_u32 s7, s3, s11
	s_and_b32 s0, exec_lo, s33
	v_lshlrev_b64 v[4:5], 2, v[4:5]
	s_cselect_b32 s0, s34, 0
	s_cselect_b32 s1, s35, 0
	s_sub_u32 s0, s6, s0
	s_delay_alu instid0(VALU_DEP_2)
	v_add3_u32 v7, v7, v15, v14
	s_subb_u32 s1, s7, s1
	v_add_co_u32 v64, vcc_lo, s30, v4
	v_add_co_ci_u32_e32 v65, vcc_lo, s31, v5, vcc_lo
	v_add_co_u32 v10, vcc_lo, v8, s10
	v_lshlrev_b64 v[6:7], 2, v[6:7]
	v_mov_b32_e32 v4, 0
	v_add_co_ci_u32_e32 v11, vcc_lo, s11, v9, vcc_lo
	v_dual_mov_b32 v5, 0 :: v_dual_mov_b32 v14, s38
	v_add_co_u32 v12, vcc_lo, s0, v12
	v_add_co_ci_u32_e32 v13, vcc_lo, s1, v13, vcc_lo
	v_add_co_u32 v66, vcc_lo, s26, v6
	s_delay_alu instid0(VALU_DEP_4)
	v_dual_mov_b32 v68, 0 :: v_dual_mov_b32 v49, v5
	v_add_co_ci_u32_e32 v67, vcc_lo, s27, v7, vcc_lo
	v_mov_b32_e32 v48, v4
	s_mov_b32 s50, 0
	s_mov_b64 s[14:15], 1
	s_mov_b32 s1, 0
                                        ; implicit-def: $sgpr11
	s_branch .LBB0_20
.LBB0_19:                               ;   in Loop: Header=BB0_20 Depth=1
	s_or_b32 exec_lo, exec_lo, s22
	s_delay_alu instid0(SALU_CYCLE_1) | instskip(NEXT) | instid1(SALU_CYCLE_1)
	s_and_b32 s0, exec_lo, s0
	s_or_b32 s1, s0, s1
	s_and_not1_b32 s0, s11, exec_lo
	s_and_b32 s11, s21, exec_lo
	s_delay_alu instid0(SALU_CYCLE_1)
	s_or_b32 s11, s0, s11
	s_and_not1_b32 exec_lo, exec_lo, s1
	s_cbranch_execz .LBB0_73
.LBB0_20:                               ; =>This Loop Header: Depth=1
                                        ;     Child Loop BB0_23 Depth 2
                                        ;       Child Loop BB0_31 Depth 3
                                        ;         Child Loop BB0_51 Depth 4
                                        ;         Child Loop BB0_67 Depth 4
	v_cmp_lt_i64_e64 s22, s[14:15], s[16:17]
	s_waitcnt vmcnt(0)
	v_ashrrev_i32_e32 v15, 31, v14
	v_dual_mov_b32 v61, v49 :: v_dual_mov_b32 v60, v48
	v_dual_mov_b32 v57, v31 :: v_dual_mov_b32 v56, v30
	;; [unrolled: 1-line block ×5, first 2 shown]
	s_cmp_lg_u64 s[14:15], s[16:17]
	s_mov_b32 s30, 0
	s_cselect_b32 s31, -1, 0
                                        ; implicit-def: $sgpr36
                                        ; implicit-def: $sgpr23
                                        ; implicit-def: $sgpr21
                                        ; implicit-def: $sgpr38
                                        ; implicit-def: $sgpr37
	s_branch .LBB0_23
.LBB0_21:                               ;   in Loop: Header=BB0_23 Depth=2
	s_or_b32 exec_lo, exec_lo, s0
	s_delay_alu instid0(SALU_CYCLE_1)
	s_and_b32 s50, s40, exec_lo
	s_and_not1_b32 s0, s38, exec_lo
	s_and_not1_b32 s39, s39, exec_lo
	v_dual_mov_b32 v48, v60 :: v_dual_mov_b32 v49, v61
	v_dual_mov_b32 v30, v56 :: v_dual_mov_b32 v31, v57
	;; [unrolled: 1-line block ×5, first 2 shown]
	s_and_not1_b32 s37, s37, exec_lo
	s_or_b32 s38, s0, s50
	s_or_not1_b32 s0, s22, exec_lo
                                        ; implicit-def: $vgpr50_vgpr51
                                        ; implicit-def: $vgpr46_vgpr47
                                        ; implicit-def: $vgpr44_vgpr45
                                        ; implicit-def: $vgpr16_vgpr17
.LBB0_22:                               ;   in Loop: Header=BB0_23 Depth=2
	s_or_b32 exec_lo, exec_lo, s41
	s_xor_b32 s39, s39, -1
	s_and_b32 s0, exec_lo, s0
	v_dual_mov_b32 v15, v13 :: v_dual_mov_b32 v14, v12
	s_or_b32 s30, s0, s30
	s_and_not1_b32 s0, s21, exec_lo
	s_and_b32 s21, s37, exec_lo
	s_and_not1_b32 s23, s23, exec_lo
	s_or_b32 s21, s0, s21
	s_and_b32 s0, s38, exec_lo
	s_and_not1_b32 s36, s36, exec_lo
	s_and_b32 s39, s39, exec_lo
	s_or_b32 s23, s23, s0
	s_or_b32 s36, s36, s39
	s_and_not1_b32 exec_lo, exec_lo, s30
	s_cbranch_execz .LBB0_71
.LBB0_23:                               ;   Parent Loop BB0_20 Depth=1
                                        ; =>  This Loop Header: Depth=2
                                        ;       Child Loop BB0_31 Depth 3
                                        ;         Child Loop BB0_51 Depth 4
                                        ;         Child Loop BB0_67 Depth 4
	v_dual_mov_b32 v16, v60 :: v_dual_mov_b32 v17, v61
	v_dual_mov_b32 v18, v56 :: v_dual_mov_b32 v19, v57
	;; [unrolled: 1-line block ×5, first 2 shown]
	s_mov_b32 s43, 0
                                        ; implicit-def: $sgpr40
                                        ; implicit-def: $sgpr39
                                        ; implicit-def: $sgpr44
                                        ; implicit-def: $sgpr42
                                        ; implicit-def: $sgpr41
                                        ; implicit-def: $sgpr48
                                        ; implicit-def: $sgpr49
                                        ; implicit-def: $sgpr45
                                        ; implicit-def: $sgpr47
                                        ; implicit-def: $sgpr46
	s_branch .LBB0_31
.LBB0_24:                               ;   in Loop: Header=BB0_31 Depth=3
	s_or_b32 exec_lo, exec_lo, s63
.LBB0_25:                               ;   in Loop: Header=BB0_31 Depth=3
	s_delay_alu instid0(SALU_CYCLE_1)
	s_or_b32 exec_lo, exec_lo, s62
.LBB0_26:                               ;   in Loop: Header=BB0_31 Depth=3
	s_delay_alu instid0(SALU_CYCLE_1)
	s_or_b32 exec_lo, exec_lo, s61
	v_sub_co_u32 v34, vcc_lo, v32, s8
	v_subrev_co_ci_u32_e32 v35, vcc_lo, s9, v33, vcc_lo
	v_dual_mov_b32 v37, v33 :: v_dual_mov_b32 v36, v32
	s_and_not1_b32 s0, s56, exec_lo
	s_and_b32 s56, s53, exec_lo
	s_delay_alu instid0(SALU_CYCLE_1)
	s_or_b32 s56, s0, s56
.LBB0_27:                               ;   in Loop: Header=BB0_31 Depth=3
	s_or_b32 exec_lo, exec_lo, s60
	s_delay_alu instid0(SALU_CYCLE_1) | instskip(SKIP_1) | instid1(SALU_CYCLE_1)
	s_and_not1_b32 s0, s53, exec_lo
	s_and_b32 s53, s56, exec_lo
	s_or_b32 s53, s0, s53
.LBB0_28:                               ;   in Loop: Header=BB0_31 Depth=3
	s_or_b32 exec_lo, exec_lo, s55
	s_delay_alu instid0(SALU_CYCLE_1)
	s_and_b32 s0, s53, exec_lo
	s_and_not1_b32 s57, s57, exec_lo
	s_xor_b32 s55, exec_lo, -1
.LBB0_29:                               ;   in Loop: Header=BB0_31 Depth=3
	s_or_b32 exec_lo, exec_lo, s50
	s_delay_alu instid0(SALU_CYCLE_1)
	s_and_not1_b32 s46, s46, exec_lo
	s_and_b32 s0, s0, exec_lo
	s_and_not1_b32 s45, s45, exec_lo
	s_or_b32 s46, s46, s0
	s_and_not1_b32 s0, s47, exec_lo
	s_and_b32 s47, s58, exec_lo
	s_and_b32 s50, s59, exec_lo
	v_dual_mov_b32 v43, v25 :: v_dual_mov_b32 v42, v24
	v_dual_mov_b32 v41, v23 :: v_dual_mov_b32 v40, v22
	;; [unrolled: 1-line block ×8, first 2 shown]
	s_or_b32 s47, s0, s47
	s_or_b32 s45, s45, s50
	s_and_not1_b32 s0, s49, exec_lo
	s_and_b32 s49, s57, exec_lo
	s_and_not1_b32 s48, s48, exec_lo
	s_and_b32 s50, s55, exec_lo
	s_or_b32 s49, s0, s49
	s_or_b32 s48, s48, s50
                                        ; implicit-def: $sgpr50
.LBB0_30:                               ;   in Loop: Header=BB0_31 Depth=3
	s_or_b32 exec_lo, exec_lo, s51
	s_delay_alu instid0(SALU_CYCLE_1)
	s_and_b32 s0, exec_lo, s48
	v_dual_mov_b32 v53, v25 :: v_dual_mov_b32 v52, v24
	s_or_b32 s43, s0, s43
	s_and_not1_b32 s0, s50, exec_lo
	s_and_b32 s50, s46, exec_lo
	s_and_not1_b32 s41, s41, exec_lo
	s_and_b32 s51, s47, exec_lo
	s_or_b32 s50, s0, s50
	s_or_b32 s41, s41, s51
	s_and_not1_b32 s0, s42, exec_lo
	s_and_b32 s42, s45, exec_lo
	s_and_not1_b32 s44, s44, exec_lo
	s_and_b32 s51, s54, exec_lo
	v_dual_mov_b32 v55, v23 :: v_dual_mov_b32 v54, v22
	v_dual_mov_b32 v59, v21 :: v_dual_mov_b32 v58, v20
	v_dual_mov_b32 v57, v19 :: v_dual_mov_b32 v56, v18
	v_dual_mov_b32 v61, v17 :: v_dual_mov_b32 v60, v16
	v_dual_mov_b32 v16, v26 :: v_dual_mov_b32 v17, v27
	v_dual_mov_b32 v18, v28 :: v_dual_mov_b32 v19, v29
	v_dual_mov_b32 v20, v32 :: v_dual_mov_b32 v21, v33
	v_dual_mov_b32 v22, v34 :: v_dual_mov_b32 v23, v35
	v_dual_mov_b32 v24, v36 :: v_dual_mov_b32 v25, v37
	s_or_b32 s42, s0, s42
	s_or_b32 s44, s44, s51
	s_and_not1_b32 s0, s39, exec_lo
	s_and_b32 s39, s52, exec_lo
	s_and_not1_b32 s40, s40, exec_lo
	s_and_b32 s51, s49, exec_lo
	s_or_b32 s39, s0, s39
	s_or_b32 s40, s40, s51
	s_and_not1_b32 exec_lo, exec_lo, s43
	s_cbranch_execz .LBB0_68
.LBB0_31:                               ;   Parent Loop BB0_20 Depth=1
                                        ;     Parent Loop BB0_23 Depth=2
                                        ; =>    This Loop Header: Depth=3
                                        ;         Child Loop BB0_51 Depth 4
                                        ;         Child Loop BB0_67 Depth 4
	s_delay_alu instid0(VALU_DEP_1)
	v_cmp_ge_i64_e32 vcc_lo, v[14:15], v[24:25]
	s_and_not1_b32 s0, s49, exec_lo
	s_and_b32 s49, s50, exec_lo
	s_and_not1_b32 s46, s46, exec_lo
	s_or_b32 s47, s47, exec_lo
	s_and_not1_b32 s45, s45, exec_lo
	s_or_b32 s49, s0, s49
	s_or_b32 s48, s48, exec_lo
                                        ; implicit-def: $vgpr36_vgpr37
                                        ; implicit-def: $vgpr34_vgpr35
                                        ; implicit-def: $vgpr32_vgpr33
                                        ; implicit-def: $vgpr28_vgpr29
                                        ; implicit-def: $vgpr26_vgpr27
                                        ; implicit-def: $vgpr42_vgpr43
                                        ; implicit-def: $vgpr40_vgpr41
                                        ; implicit-def: $vgpr38_vgpr39
                                        ; implicit-def: $vgpr30_vgpr31
                                        ; implicit-def: $vgpr48_vgpr49
                                        ; implicit-def: $sgpr54
                                        ; implicit-def: $vgpr44_vgpr45
                                        ; implicit-def: $vgpr46_vgpr47
                                        ; implicit-def: $vgpr50_vgpr51
                                        ; implicit-def: $sgpr52
	s_and_saveexec_b32 s51, vcc_lo
	s_cbranch_execz .LBB0_30
; %bb.32:                               ;   in Loop: Header=BB0_31 Depth=3
	v_cmp_le_i64_e32 vcc_lo, s[18:19], v[18:19]
	s_mov_b32 s61, 0
	s_mov_b32 s52, 0
                                        ; implicit-def: $vgpr30_vgpr31
	s_or_b32 s0, vcc_lo, s20
	s_delay_alu instid0(SALU_CYCLE_1) | instskip(NEXT) | instid1(SALU_CYCLE_1)
	s_xor_b32 s0, s0, -1
	s_and_saveexec_b32 s53, s0
	s_delay_alu instid0(SALU_CYCLE_1)
	s_xor_b32 s53, exec_lo, s53
	s_cbranch_execz .LBB0_34
; %bb.33:                               ;   in Loop: Header=BB0_31 Depth=3
	v_lshlrev_b64 v[26:27], 2, v[18:19]
	s_mov_b32 s52, exec_lo
	s_delay_alu instid0(VALU_DEP_1) | instskip(NEXT) | instid1(VALU_DEP_1)
	v_add_co_u32 v26, s0, s12, v26
	v_add_co_ci_u32_e64 v27, s0, s13, v27, s0
	global_load_b32 v30, v[26:27], off
	s_waitcnt vmcnt(0)
	v_ashrrev_i32_e32 v31, 31, v30
	s_and_not1_saveexec_b32 s53, s53
	s_cbranch_execz .LBB0_38
	s_branch .LBB0_35
.LBB0_34:                               ;   in Loop: Header=BB0_31 Depth=3
	s_and_not1_saveexec_b32 s53, s53
	s_cbranch_execz .LBB0_38
.LBB0_35:                               ;   in Loop: Header=BB0_31 Depth=3
	s_or_b32 s54, vcc_lo, s33
	s_mov_b32 s0, -1
	s_xor_b32 s56, s54, -1
	s_mov_b32 s55, s52
                                        ; implicit-def: $vgpr30_vgpr31
	s_and_saveexec_b32 s54, s56
	s_cbranch_execz .LBB0_37
; %bb.36:                               ;   in Loop: Header=BB0_31 Depth=3
	v_lshlrev_b64 v[26:27], 2, v[18:19]
	s_and_not1_b32 s55, s52, exec_lo
	s_delay_alu instid0(VALU_DEP_1) | instskip(NEXT) | instid1(VALU_DEP_2)
	v_add_co_u32 v26, vcc_lo, s12, v26
	v_add_co_ci_u32_e32 v27, vcc_lo, s13, v27, vcc_lo
	global_load_b32 v30, v[26:27], off
	s_waitcnt vmcnt(0)
	v_ashrrev_i32_e32 v31, 31, v30
	s_delay_alu instid0(VALU_DEP_1) | instskip(SKIP_2) | instid1(VALU_DEP_1)
	v_cmp_le_i64_e32 vcc_lo, v[0:1], v[30:31]
	v_cmp_gt_i64_e64 s0, v[0:1], v[30:31]
	s_and_b32 s56, vcc_lo, exec_lo
	s_or_not1_b32 s0, s0, exec_lo
	s_or_b32 s55, s55, s56
.LBB0_37:                               ;   in Loop: Header=BB0_31 Depth=3
	s_or_b32 exec_lo, exec_lo, s54
	s_delay_alu instid0(SALU_CYCLE_1)
	s_and_not1_b32 s52, s52, exec_lo
	s_and_b32 s54, s55, exec_lo
	s_and_b32 s61, s0, exec_lo
	s_or_b32 s52, s52, s54
.LBB0_38:                               ;   in Loop: Header=BB0_31 Depth=3
	s_or_b32 exec_lo, exec_lo, s53
	s_mov_b32 s56, 0
                                        ; implicit-def: $sgpr53
                                        ; implicit-def: $vgpr36_vgpr37
                                        ; implicit-def: $vgpr34_vgpr35
                                        ; implicit-def: $vgpr32_vgpr33
                                        ; implicit-def: $vgpr28_vgpr29
                                        ; implicit-def: $vgpr26_vgpr27
	s_and_saveexec_b32 s0, s52
	s_cbranch_execz .LBB0_44
; %bb.39:                               ;   in Loop: Header=BB0_31 Depth=3
	v_add_co_u32 v28, vcc_lo, v18, 1
	v_add_co_ci_u32_e32 v29, vcc_lo, 0, v19, vcc_lo
	s_and_b32 vcc_lo, exec_lo, s20
	s_cbranch_vccz .LBB0_41
; %bb.40:                               ;   in Loop: Header=BB0_31 Depth=3
	v_sub_co_u32 v26, vcc_lo, v62, v30
	v_sub_co_ci_u32_e32 v27, vcc_lo, v63, v31, vcc_lo
	s_and_b32 s52, s50, exec_lo
	s_delay_alu instid0(VALU_DEP_1)
	v_cmp_lt_i64_e32 vcc_lo, s[8:9], v[26:27]
	v_cndmask_b32_e32 v33, s9, v27, vcc_lo
	v_cndmask_b32_e32 v32, s8, v26, vcc_lo
	s_cbranch_execz .LBB0_42
	s_branch .LBB0_43
.LBB0_41:                               ;   in Loop: Header=BB0_31 Depth=3
                                        ; implicit-def: $sgpr52
                                        ; implicit-def: $vgpr32_vgpr33
.LBB0_42:                               ;   in Loop: Header=BB0_31 Depth=3
	v_add_co_u32 v26, vcc_lo, s34, v30
	v_add_co_ci_u32_e32 v27, vcc_lo, s35, v31, vcc_lo
	s_and_not1_b32 s52, s52, exec_lo
	s_delay_alu instid0(VALU_DEP_2) | instskip(NEXT) | instid1(VALU_DEP_2)
	v_sub_co_u32 v26, vcc_lo, v62, v26
	v_sub_co_ci_u32_e32 v27, vcc_lo, v63, v27, vcc_lo
	s_and_b32 s53, s50, exec_lo
	s_delay_alu instid0(SALU_CYCLE_1) | instskip(NEXT) | instid1(VALU_DEP_1)
	s_or_b32 s52, s52, s53
	v_cmp_lt_i64_e32 vcc_lo, s[8:9], v[26:27]
	v_cndmask_b32_e32 v33, s9, v27, vcc_lo
	v_cndmask_b32_e32 v32, s8, v26, vcc_lo
.LBB0_43:                               ;   in Loop: Header=BB0_31 Depth=3
	v_dual_mov_b32 v37, v25 :: v_dual_mov_b32 v36, v24
	v_dual_mov_b32 v35, v23 :: v_dual_mov_b32 v34, v22
	;; [unrolled: 1-line block ×3, first 2 shown]
	s_mov_b32 s56, exec_lo
	s_and_b32 s53, s52, exec_lo
.LBB0_44:                               ;   in Loop: Header=BB0_31 Depth=3
	s_or_b32 exec_lo, exec_lo, s0
	s_mov_b32 s55, -1
	s_mov_b32 s58, -1
                                        ; implicit-def: $sgpr57
                                        ; implicit-def: $sgpr59
                                        ; implicit-def: $sgpr54
                                        ; implicit-def: $sgpr52
	s_and_saveexec_b32 s60, s61
	s_cbranch_execz .LBB0_59
; %bb.45:                               ;   in Loop: Header=BB0_31 Depth=3
	s_and_b32 vcc_lo, exec_lo, s31
	s_mov_b32 s52, -1
	s_cbranch_vccz .LBB0_57
; %bb.46:                               ;   in Loop: Header=BB0_31 Depth=3
	v_cmp_le_i64_e32 vcc_lo, v[14:15], v[22:23]
	s_mov_b32 s61, s56
	s_mov_b32 s0, s50
                                        ; implicit-def: $sgpr62
                                        ; implicit-def: $vgpr36_vgpr37
                                        ; implicit-def: $vgpr34_vgpr35
                                        ; implicit-def: $vgpr26_vgpr27
	s_or_b32 s57, vcc_lo, s20
	s_delay_alu instid0(SALU_CYCLE_1)
	s_and_saveexec_b32 s54, s57
	s_cbranch_execz .LBB0_56
; %bb.47:                               ;   in Loop: Header=BB0_31 Depth=3
	v_dual_mov_b32 v37, v11 :: v_dual_mov_b32 v36, v10
	v_dual_mov_b32 v35, v9 :: v_dual_mov_b32 v34, v8
	;; [unrolled: 1-line block ×3, first 2 shown]
	s_and_not1_b32 vcc_lo, exec_lo, s20
	s_cbranch_vccnz .LBB0_55
; %bb.48:                               ;   in Loop: Header=BB0_31 Depth=3
	v_dual_mov_b32 v27, v17 :: v_dual_mov_b32 v26, v16
	s_mov_b32 s57, exec_lo
	v_cmpx_gt_i64_e64 s[2:3], v[22:23]
	s_cbranch_execz .LBB0_54
; %bb.49:                               ;   in Loop: Header=BB0_31 Depth=3
	v_cmp_gt_i64_e32 vcc_lo, s[2:3], v[24:25]
	v_ashrrev_i32_e32 v31, 31, v22
	s_mov_b32 s58, exec_lo
	v_dual_mov_b32 v27, v17 :: v_dual_mov_b32 v30, v22
	v_mov_b32_e32 v26, v16
	v_cndmask_b32_e32 v28, s2, v24, vcc_lo
	v_cndmask_b32_e32 v29, s3, v25, vcc_lo
	s_delay_alu instid0(VALU_DEP_1)
	v_cmpx_lt_i64_e64 v[30:31], v[28:29]
	s_cbranch_execz .LBB0_53
; %bb.50:                               ;   in Loop: Header=BB0_31 Depth=3
	v_lshlrev_b64 v[26:27], 2, v[16:17]
	v_dual_mov_b32 v35, v23 :: v_dual_mov_b32 v34, v22
	s_mov_b32 s59, 0
	s_delay_alu instid0(VALU_DEP_2) | instskip(NEXT) | instid1(VALU_DEP_3)
	v_add_co_u32 v32, vcc_lo, v66, v26
	v_add_co_ci_u32_e32 v33, vcc_lo, v67, v27, vcc_lo
	v_dual_mov_b32 v27, v17 :: v_dual_mov_b32 v26, v16
	.p2align	6
.LBB0_51:                               ;   Parent Loop BB0_20 Depth=1
                                        ;     Parent Loop BB0_23 Depth=2
                                        ;       Parent Loop BB0_31 Depth=3
                                        ; =>      This Inner Loop Header: Depth=4
	v_add_co_u32 v30, vcc_lo, v30, s10
	s_delay_alu instid0(VALU_DEP_2) | instskip(NEXT) | instid1(VALU_DEP_3)
	v_add_co_u32 v26, vcc_lo, v26, 1
	v_add_co_ci_u32_e32 v27, vcc_lo, 0, v27, vcc_lo
	s_delay_alu instid0(VALU_DEP_3) | instskip(SKIP_2) | instid1(VALU_DEP_1)
	v_ashrrev_i32_e32 v31, 31, v30
	global_store_b32 v[32:33], v34, off
	v_add_co_u32 v32, s0, v32, 4
	v_add_co_ci_u32_e64 v33, s0, 0, v33, s0
	v_cmp_ge_i64_e32 vcc_lo, v[30:31], v[28:29]
	v_dual_mov_b32 v35, v31 :: v_dual_mov_b32 v34, v30
	s_or_b32 s59, vcc_lo, s59
	s_delay_alu instid0(SALU_CYCLE_1)
	s_and_not1_b32 exec_lo, exec_lo, s59
	s_cbranch_execnz .LBB0_51
; %bb.52:                               ;   in Loop: Header=BB0_31 Depth=3
	s_or_b32 exec_lo, exec_lo, s59
.LBB0_53:                               ;   in Loop: Header=BB0_31 Depth=3
	s_delay_alu instid0(SALU_CYCLE_1)
	s_or_b32 exec_lo, exec_lo, s58
.LBB0_54:                               ;   in Loop: Header=BB0_31 Depth=3
	s_delay_alu instid0(SALU_CYCLE_1)
	s_or_b32 exec_lo, exec_lo, s57
	v_dual_mov_b32 v37, s7 :: v_dual_mov_b32 v36, s6
	v_dual_mov_b32 v35, s3 :: v_dual_mov_b32 v34, s2
.LBB0_55:                               ;   in Loop: Header=BB0_31 Depth=3
	s_mov_b32 s62, -1
	s_and_not1_b32 s0, s50, exec_lo
	s_or_b32 s61, s56, exec_lo
.LBB0_56:                               ;   in Loop: Header=BB0_31 Depth=3
	s_or_b32 exec_lo, exec_lo, s54
	v_dual_mov_b32 v33, v21 :: v_dual_mov_b32 v32, v20
	v_dual_mov_b32 v29, v19 :: v_dual_mov_b32 v28, v18
	s_mov_b32 s54, 0
	s_branch .LBB0_58
.LBB0_57:                               ;   in Loop: Header=BB0_31 Depth=3
	s_mov_b32 s54, -1
	s_mov_b32 s0, s50
	s_mov_b32 s61, s56
                                        ; implicit-def: $sgpr62
                                        ; implicit-def: $vgpr36_vgpr37
                                        ; implicit-def: $vgpr34_vgpr35
                                        ; implicit-def: $vgpr32_vgpr33
                                        ; implicit-def: $vgpr28_vgpr29
                                        ; implicit-def: $vgpr26_vgpr27
.LBB0_58:                               ;   in Loop: Header=BB0_31 Depth=3
	s_and_b32 s59, s50, exec_lo
	s_and_b32 s57, s0, exec_lo
	s_and_not1_b32 s0, s53, exec_lo
	s_and_b32 s50, s62, exec_lo
	s_and_not1_b32 s56, s56, exec_lo
	s_and_b32 s61, s61, exec_lo
	s_xor_b32 s58, exec_lo, -1
	s_or_b32 s53, s0, s50
	s_or_b32 s56, s56, s61
.LBB0_59:                               ;   in Loop: Header=BB0_31 Depth=3
	s_or_b32 exec_lo, exec_lo, s60
                                        ; implicit-def: $sgpr0
	s_and_saveexec_b32 s50, s56
	s_cbranch_execz .LBB0_29
; %bb.60:                               ;   in Loop: Header=BB0_31 Depth=3
	s_xor_b32 s0, s53, -1
	s_delay_alu instid0(SALU_CYCLE_1) | instskip(NEXT) | instid1(SALU_CYCLE_1)
	s_and_saveexec_b32 s55, s0
	s_xor_b32 s55, exec_lo, s55
	s_cbranch_execz .LBB0_28
; %bb.61:                               ;   in Loop: Header=BB0_31 Depth=3
	v_add_co_u32 v30, vcc_lo, v36, s8
	v_add_co_ci_u32_e32 v31, vcc_lo, s9, v37, vcc_lo
	s_mov_b32 s0, exec_lo
                                        ; implicit-def: $sgpr56
	s_delay_alu instid0(VALU_DEP_1)
	v_cmpx_le_i64_e64 v[32:33], v[30:31]
	s_xor_b32 s0, exec_lo, s0
; %bb.62:                               ;   in Loop: Header=BB0_31 Depth=3
	v_cmp_gt_i64_e32 vcc_lo, v[32:33], v[36:37]
	s_and_b32 s56, s53, exec_lo
	v_dual_cndmask_b32 v37, v37, v31 :: v_dual_cndmask_b32 v36, v36, v30
; %bb.63:                               ;   in Loop: Header=BB0_31 Depth=3
	s_and_not1_saveexec_b32 s60, s0
	s_cbranch_execz .LBB0_27
; %bb.64:                               ;   in Loop: Header=BB0_31 Depth=3
	s_mov_b32 s61, exec_lo
	v_cmpx_gt_i64_e64 s[2:3], v[34:35]
	s_cbranch_execz .LBB0_26
; %bb.65:                               ;   in Loop: Header=BB0_31 Depth=3
	v_cmp_gt_i64_e32 vcc_lo, s[2:3], v[36:37]
	v_ashrrev_i32_e32 v35, 31, v34
	s_mov_b32 s62, exec_lo
	v_cndmask_b32_e32 v31, s3, v37, vcc_lo
	v_cndmask_b32_e32 v30, s2, v36, vcc_lo
	s_delay_alu instid0(VALU_DEP_1)
	v_cmpx_lt_i64_e64 v[34:35], v[30:31]
	s_cbranch_execz .LBB0_25
; %bb.66:                               ;   in Loop: Header=BB0_31 Depth=3
	v_lshlrev_b64 v[36:37], 2, v[26:27]
	s_mov_b32 s63, 0
	s_delay_alu instid0(VALU_DEP_1) | instskip(NEXT) | instid1(VALU_DEP_2)
	v_add_co_u32 v36, vcc_lo, v66, v36
	v_add_co_ci_u32_e32 v37, vcc_lo, v67, v37, vcc_lo
	.p2align	6
.LBB0_67:                               ;   Parent Loop BB0_20 Depth=1
                                        ;     Parent Loop BB0_23 Depth=2
                                        ;       Parent Loop BB0_31 Depth=3
                                        ; =>      This Inner Loop Header: Depth=4
	global_store_b32 v[36:37], v34, off
	v_add_co_u32 v34, vcc_lo, v34, s10
	v_add_co_u32 v26, vcc_lo, v26, 1
	v_add_co_ci_u32_e32 v27, vcc_lo, 0, v27, vcc_lo
	s_delay_alu instid0(VALU_DEP_3) | instskip(SKIP_1) | instid1(VALU_DEP_1)
	v_ashrrev_i32_e32 v35, 31, v34
	v_add_co_u32 v36, s0, v36, 4
	v_add_co_ci_u32_e64 v37, s0, 0, v37, s0
	s_delay_alu instid0(VALU_DEP_3) | instskip(SKIP_1) | instid1(SALU_CYCLE_1)
	v_cmp_ge_i64_e32 vcc_lo, v[34:35], v[30:31]
	s_or_b32 s63, vcc_lo, s63
	s_and_not1_b32 exec_lo, exec_lo, s63
	s_cbranch_execnz .LBB0_67
	s_branch .LBB0_24
.LBB0_68:                               ;   in Loop: Header=BB0_23 Depth=2
	s_or_b32 exec_lo, exec_lo, s43
	v_dual_mov_b32 v17, v15 :: v_dual_mov_b32 v16, v14
	s_and_not1_b32 s37, s37, exec_lo
	s_and_b32 s43, s44, exec_lo
	s_and_not1_b32 s38, s38, exec_lo
	s_and_b32 s42, s42, exec_lo
	s_mov_b32 s0, -1
	s_or_b32 s37, s37, s43
	s_or_b32 s38, s38, s42
                                        ; implicit-def: $sgpr50
	s_and_saveexec_b32 s42, s41
	s_delay_alu instid0(SALU_CYCLE_1)
	s_xor_b32 s41, exec_lo, s42
	s_cbranch_execz .LBB0_22
; %bb.69:                               ;   in Loop: Header=BB0_23 Depth=2
	s_mov_b32 s0, exec_lo
	v_cmpx_lt_i64_e64 v[14:15], v[54:55]
	s_cbranch_execz .LBB0_21
; %bb.70:                               ;   in Loop: Header=BB0_23 Depth=2
	v_lshlrev_b64 v[15:16], 2, v[4:5]
	s_delay_alu instid0(VALU_DEP_1) | instskip(NEXT) | instid1(VALU_DEP_2)
	v_add_co_u32 v15, vcc_lo, v64, v15
	v_add_co_ci_u32_e32 v16, vcc_lo, v65, v16, vcc_lo
	v_add_co_u32 v4, vcc_lo, v4, 1
	v_add_co_ci_u32_e32 v5, vcc_lo, 0, v5, vcc_lo
	global_store_b32 v[15:16], v14, off
	s_branch .LBB0_21
.LBB0_71:                               ;   in Loop: Header=BB0_20 Depth=1
	s_or_b32 exec_lo, exec_lo, s30
	s_mov_b32 s0, -1
                                        ; implicit-def: $sgpr50
                                        ; implicit-def: $vgpr14
	s_and_saveexec_b32 s22, s36
	s_delay_alu instid0(SALU_CYCLE_1)
	s_xor_b32 s22, exec_lo, s22
	s_cbranch_execz .LBB0_19
; %bb.72:                               ;   in Loop: Header=BB0_20 Depth=1
	s_add_u32 s30, s14, 1
	s_addc_u32 s31, s15, 0
	s_lshl_b64 s[14:15], s[14:15], 2
	s_delay_alu instid0(SALU_CYCLE_1)
	s_add_u32 s14, s4, s14
	s_addc_u32 s15, s5, s15
	s_and_b32 s50, s23, exec_lo
	global_load_b32 v14, v68, s[14:15]
	s_xor_b32 s0, exec_lo, -1
	s_mov_b64 s[14:15], s[30:31]
	s_branch .LBB0_19
.LBB0_73:
	s_or_b32 exec_lo, exec_lo, s1
	s_and_saveexec_b32 s0, s11
	s_delay_alu instid0(SALU_CYCLE_1)
	s_xor_b32 s0, exec_lo, s0
	s_cbranch_execz .LBB0_77
; %bb.74:
	v_cmp_gt_i64_e32 vcc_lo, s[2:3], v[16:17]
	s_and_b32 s4, s20, vcc_lo
	s_delay_alu instid0(SALU_CYCLE_1)
	s_and_saveexec_b32 s1, s4
	s_cbranch_execz .LBB0_76
; %bb.75:
	v_lshlrev_b64 v[0:1], 2, v[4:5]
	v_add_co_u32 v4, vcc_lo, v4, 1
	s_delay_alu instid0(VALU_DEP_2) | instskip(NEXT) | instid1(VALU_DEP_3)
	v_add_co_u32 v0, vcc_lo, v64, v0
	v_add_co_ci_u32_e32 v1, vcc_lo, v65, v1, vcc_lo
	global_store_b32 v[0:1], v16, off
.LBB0_76:
	s_or_b32 exec_lo, exec_lo, s1
.LBB0_77:
	s_delay_alu instid0(SALU_CYCLE_1) | instskip(NEXT) | instid1(SALU_CYCLE_1)
	s_or_b32 exec_lo, exec_lo, s0
	s_mov_b32 s1, exec_lo
	v_cmpx_gt_i64_e64 s[2:3], v[46:47]
	s_cbranch_execz .LBB0_83
; %bb.78:
	v_cmp_gt_i64_e32 vcc_lo, s[2:3], v[50:51]
	v_ashrrev_i32_e32 v47, 31, v46
	v_cndmask_b32_e32 v1, s3, v51, vcc_lo
	v_cndmask_b32_e32 v0, s2, v50, vcc_lo
	s_mov_b32 s2, exec_lo
	s_delay_alu instid0(VALU_DEP_1)
	v_cmpx_lt_i64_e64 v[46:47], v[0:1]
	s_cbranch_execz .LBB0_82
; %bb.79:
	v_lshlrev_b64 v[8:9], 2, v[44:45]
	s_mov_b32 s3, 0
	s_delay_alu instid0(VALU_DEP_1) | instskip(NEXT) | instid1(VALU_DEP_2)
	v_add_co_u32 v5, vcc_lo, v6, v8
	v_add_co_ci_u32_e32 v6, vcc_lo, v7, v9, vcc_lo
	s_delay_alu instid0(VALU_DEP_2) | instskip(NEXT) | instid1(VALU_DEP_2)
	v_add_co_u32 v5, vcc_lo, s26, v5
	v_add_co_ci_u32_e32 v6, vcc_lo, s27, v6, vcc_lo
.LBB0_80:                               ; =>This Inner Loop Header: Depth=1
	global_store_b32 v[5:6], v46, off
	v_add_co_u32 v46, vcc_lo, v46, s10
	v_add_co_u32 v44, vcc_lo, v44, 1
	v_add_co_ci_u32_e32 v45, vcc_lo, 0, v45, vcc_lo
	s_delay_alu instid0(VALU_DEP_3) | instskip(SKIP_1) | instid1(VALU_DEP_1)
	v_ashrrev_i32_e32 v47, 31, v46
	v_add_co_u32 v5, s0, v5, 4
	v_add_co_ci_u32_e64 v6, s0, 0, v6, s0
	s_delay_alu instid0(VALU_DEP_3) | instskip(SKIP_1) | instid1(SALU_CYCLE_1)
	v_cmp_ge_i64_e32 vcc_lo, v[46:47], v[0:1]
	s_or_b32 s3, vcc_lo, s3
	s_and_not1_b32 exec_lo, exec_lo, s3
	s_cbranch_execnz .LBB0_80
; %bb.81:
	s_or_b32 exec_lo, exec_lo, s3
.LBB0_82:
	s_delay_alu instid0(SALU_CYCLE_1)
	s_or_b32 exec_lo, exec_lo, s2
.LBB0_83:
	s_delay_alu instid0(SALU_CYCLE_1) | instskip(SKIP_1) | instid1(VALU_DEP_1)
	s_or_b32 exec_lo, exec_lo, s1
	v_lshlrev_b64 v[0:1], 2, v[2:3]
	v_add_co_u32 v2, vcc_lo, s24, v0
	s_delay_alu instid0(VALU_DEP_2)
	v_add_co_ci_u32_e32 v3, vcc_lo, s25, v1, vcc_lo
	v_add_co_u32 v0, vcc_lo, s28, v0
	v_add_co_ci_u32_e32 v1, vcc_lo, s29, v1, vcc_lo
	global_store_b32 v[2:3], v44, off
	global_store_b32 v[0:1], v4, off
.LBB0_84:
	s_nop 0
	s_sendmsg sendmsg(MSG_DEALLOC_VGPRS)
	s_endpgm
	.section	.rodata,"a",@progbits
	.p2align	6, 0x0
	.amdhsa_kernel _Z37convert_vertical_slash_indexes_kernelPKiS0_S0_S0_PiS1_S1_S1_llllllb
		.amdhsa_group_segment_fixed_size 0
		.amdhsa_private_segment_fixed_size 0
		.amdhsa_kernarg_size 376
		.amdhsa_user_sgpr_count 13
		.amdhsa_user_sgpr_dispatch_ptr 0
		.amdhsa_user_sgpr_queue_ptr 0
		.amdhsa_user_sgpr_kernarg_segment_ptr 1
		.amdhsa_user_sgpr_dispatch_id 0
		.amdhsa_user_sgpr_private_segment_size 0
		.amdhsa_wavefront_size32 1
		.amdhsa_uses_dynamic_stack 0
		.amdhsa_enable_private_segment 0
		.amdhsa_system_sgpr_workgroup_id_x 1
		.amdhsa_system_sgpr_workgroup_id_y 1
		.amdhsa_system_sgpr_workgroup_id_z 1
		.amdhsa_system_sgpr_workgroup_info 0
		.amdhsa_system_vgpr_workitem_id 0
		.amdhsa_next_free_vgpr 69
		.amdhsa_next_free_sgpr 64
		.amdhsa_reserve_vcc 1
		.amdhsa_float_round_mode_32 0
		.amdhsa_float_round_mode_16_64 0
		.amdhsa_float_denorm_mode_32 3
		.amdhsa_float_denorm_mode_16_64 3
		.amdhsa_dx10_clamp 1
		.amdhsa_ieee_mode 1
		.amdhsa_fp16_overflow 0
		.amdhsa_workgroup_processor_mode 1
		.amdhsa_memory_ordered 1
		.amdhsa_forward_progress 0
		.amdhsa_shared_vgpr_count 0
		.amdhsa_exception_fp_ieee_invalid_op 0
		.amdhsa_exception_fp_denorm_src 0
		.amdhsa_exception_fp_ieee_div_zero 0
		.amdhsa_exception_fp_ieee_overflow 0
		.amdhsa_exception_fp_ieee_underflow 0
		.amdhsa_exception_fp_ieee_inexact 0
		.amdhsa_exception_int_div_zero 0
	.end_amdhsa_kernel
	.text
.Lfunc_end0:
	.size	_Z37convert_vertical_slash_indexes_kernelPKiS0_S0_S0_PiS1_S1_S1_llllllb, .Lfunc_end0-_Z37convert_vertical_slash_indexes_kernelPKiS0_S0_S0_PiS1_S1_S1_llllllb
                                        ; -- End function
	.section	.AMDGPU.csdata,"",@progbits
; Kernel info:
; codeLenInByte = 3520
; NumSgprs: 66
; NumVgprs: 69
; ScratchSize: 0
; MemoryBound: 0
; FloatMode: 240
; IeeeMode: 1
; LDSByteSize: 0 bytes/workgroup (compile time only)
; SGPRBlocks: 8
; VGPRBlocks: 8
; NumSGPRsForWavesPerEU: 66
; NumVGPRsForWavesPerEU: 69
; Occupancy: 16
; WaveLimiterHint : 0
; COMPUTE_PGM_RSRC2:SCRATCH_EN: 0
; COMPUTE_PGM_RSRC2:USER_SGPR: 13
; COMPUTE_PGM_RSRC2:TRAP_HANDLER: 0
; COMPUTE_PGM_RSRC2:TGID_X_EN: 1
; COMPUTE_PGM_RSRC2:TGID_Y_EN: 1
; COMPUTE_PGM_RSRC2:TGID_Z_EN: 1
; COMPUTE_PGM_RSRC2:TIDIG_COMP_CNT: 0
	.text
	.protected	_Z47convert_vertical_slash_indexes_kernel_mergeheadPKiS0_S0_S0_S0_S0_PiS1_S1_S1_llllllb ; -- Begin function _Z47convert_vertical_slash_indexes_kernel_mergeheadPKiS0_S0_S0_S0_S0_PiS1_S1_S1_llllllb
	.globl	_Z47convert_vertical_slash_indexes_kernel_mergeheadPKiS0_S0_S0_S0_S0_PiS1_S1_S1_llllllb
	.p2align	8
	.type	_Z47convert_vertical_slash_indexes_kernel_mergeheadPKiS0_S0_S0_S0_S0_PiS1_S1_S1_llllllb,@function
_Z47convert_vertical_slash_indexes_kernel_mergeheadPKiS0_S0_S0_S0_S0_PiS1_S1_S1_llllllb: ; @_Z47convert_vertical_slash_indexes_kernel_mergeheadPKiS0_S0_S0_S0_S0_PiS1_S1_S1_llllllb
; %bb.0:
	s_clause 0x2
	s_load_b512 s[16:31], s[0:1], 0x0
	s_load_b32 s3, s[0:1], 0x94
	s_load_b512 s[36:51], s[0:1], 0x40
	s_mov_b32 s2, s15
	s_ashr_i32 s15, s14, 31
	s_delay_alu instid0(SALU_CYCLE_1)
	s_lshl_b64 s[6:7], s[14:15], 2
	s_waitcnt lgkmcnt(0)
	s_add_u32 s4, s16, s6
	s_addc_u32 s5, s17, s7
	s_and_b32 s3, s3, 0xffff
	s_load_b32 s4, s[4:5], 0x0
	v_mad_u64_u32 v[4:5], null, s2, s3, v[0:1]
	s_mov_b32 s2, exec_lo
	s_delay_alu instid0(VALU_DEP_1) | instskip(NEXT) | instid1(VALU_DEP_1)
	v_mad_u64_u32 v[0:1], null, v4, s44, 0
	v_mad_u64_u32 v[2:3], null, v4, s45, v[1:2]
	s_waitcnt lgkmcnt(0)
	s_ashr_i32 s5, s4, 31
	s_delay_alu instid0(VALU_DEP_1) | instskip(NEXT) | instid1(VALU_DEP_1)
	v_mov_b32_e32 v1, v2
	v_cmpx_gt_i64_e64 s[4:5], v[0:1]
	s_cbranch_execz .LBB1_84
; %bb.1:
	s_load_b32 s0, s[0:1], 0x80
	s_mul_i32 s3, s15, s40
	s_mov_b32 s10, s13
	v_add_co_u32 v12, vcc_lo, v0, s44
	v_add_co_ci_u32_e32 v13, vcc_lo, s45, v1, vcc_lo
	s_waitcnt lgkmcnt(0)
	s_bitcmp1_b32 s0, 0
	s_cselect_b32 s33, -1, 0
	s_add_u32 s0, s18, s6
	s_addc_u32 s1, s19, s7
	s_mul_i32 s6, s14, s40
	s_load_b32 s2, s[0:1], 0x0
	s_mul_i32 s0, s14, s41
	s_mul_hi_u32 s1, s14, s40
	s_ashr_i32 s11, s13, 31
	s_add_i32 s0, s1, s0
	s_delay_alu instid0(SALU_CYCLE_1)
	s_add_i32 s0, s0, s3
	s_waitcnt lgkmcnt(0)
	s_ashr_i32 s3, s2, 31
	s_add_u32 s13, s6, s13
	s_addc_u32 s34, s0, s11
	s_mul_i32 s1, s13, s49
	s_mul_hi_u32 s6, s13, s48
	s_mul_i32 s7, s34, s48
	s_add_i32 s1, s6, s1
	s_mul_i32 s0, s13, s48
	s_add_i32 s1, s1, s7
	s_mul_i32 s8, s13, s51
	s_lshl_b64 s[0:1], s[0:1], 2
	s_mul_hi_u32 s9, s13, s50
	s_add_u32 s6, s20, s0
	s_mul_i32 s12, s34, s50
	s_addc_u32 s7, s21, s1
	s_add_i32 s1, s9, s8
	s_mul_i32 s0, s13, s50
	s_add_i32 s1, s1, s12
	s_delay_alu instid0(SALU_CYCLE_1) | instskip(NEXT) | instid1(SALU_CYCLE_1)
	s_lshl_b64 s[0:1], s[0:1], 2
	s_add_u32 s8, s22, s0
	s_addc_u32 s9, s23, s1
	s_lshl_b64 s[16:17], s[10:11], 2
	s_delay_alu instid0(SALU_CYCLE_1)
	s_add_u32 s10, s26, s16
	s_addc_u32 s11, s27, s17
	s_load_b32 s10, s[10:11], 0x0
	s_load_b32 s14, s[8:9], 0x0
	s_waitcnt lgkmcnt(0)
	s_ashr_i32 s11, s10, 31
	s_add_u32 s16, s24, s16
	s_addc_u32 s17, s25, s17
	s_load_b32 s12, s[16:17], 0x0
	s_load_b32 s20, s[6:7], 0x0
	s_mov_b32 s17, -1
	s_and_b32 vcc_lo, exec_lo, s33
	s_ashr_i32 s15, s14, 31
	s_cbranch_vccnz .LBB1_7
; %bb.2:
	v_add_co_u32 v2, vcc_lo, v12, s2
	v_add_co_ci_u32_e32 v3, vcc_lo, s3, v13, vcc_lo
	s_cmp_gt_i32 s10, 1
	v_dual_mov_b32 v30, 1 :: v_dual_mov_b32 v5, s14
	s_delay_alu instid0(VALU_DEP_2) | instskip(SKIP_2) | instid1(SALU_CYCLE_1)
	v_cmp_ge_i64_e32 vcc_lo, s[14:15], v[2:3]
	v_dual_mov_b32 v31, 0 :: v_dual_mov_b32 v6, s15
	s_cselect_b32 s16, -1, 0
	s_and_b32 s16, vcc_lo, s16
	s_delay_alu instid0(SALU_CYCLE_1)
	s_and_saveexec_b32 s21, s16
	s_cbranch_execz .LBB1_6
; %bb.3:
	s_add_u32 s16, s0, s22
	s_addc_u32 s17, s1, s23
	s_add_u32 s16, s16, 4
	s_addc_u32 s17, s17, 0
	s_mov_b64 s[18:19], 1
	s_mov_b32 s24, 0
	.p2align	6
.LBB1_4:                                ; =>This Inner Loop Header: Depth=1
	s_load_b32 s26, s[16:17], 0x0
	s_add_u32 s18, s18, 1
	s_addc_u32 s19, s19, 0
	s_delay_alu instid0(SALU_CYCLE_1) | instskip(SKIP_3) | instid1(SALU_CYCLE_1)
	v_cmp_ge_i64_e64 s25, s[18:19], s[10:11]
	v_dual_mov_b32 v31, s19 :: v_dual_mov_b32 v30, s18
	s_waitcnt lgkmcnt(0)
	s_ashr_i32 s27, s26, 31
	v_dual_mov_b32 v5, s26 :: v_dual_mov_b32 v6, s27
	v_cmp_lt_i64_e32 vcc_lo, s[26:27], v[2:3]
	s_or_b32 s25, vcc_lo, s25
	s_add_u32 s16, s16, 4
	s_addc_u32 s17, s17, 0
	s_and_b32 s25, exec_lo, s25
	s_delay_alu instid0(SALU_CYCLE_1) | instskip(NEXT) | instid1(SALU_CYCLE_1)
	s_or_b32 s24, s25, s24
	s_and_not1_b32 exec_lo, exec_lo, s24
	s_cbranch_execnz .LBB1_4
; %bb.5:
	s_or_b32 exec_lo, exec_lo, s24
.LBB1_6:
	s_delay_alu instid0(SALU_CYCLE_1)
	s_or_b32 exec_lo, exec_lo, s21
	v_cmp_ge_i64_e64 s16, v[2:3], v[5:6]
	v_sub_co_u32 v2, vcc_lo, v2, v5
	v_sub_co_ci_u32_e32 v3, vcc_lo, v3, v6, vcc_lo
	v_mov_b32_e32 v5, 0
	s_branch .LBB1_13
.LBB1_7:
                                        ; implicit-def: $sgpr16
                                        ; implicit-def: $vgpr30_vgpr31
                                        ; implicit-def: $vgpr2_vgpr3
	v_mov_b32_e32 v5, 0
	s_and_b32 vcc_lo, exec_lo, s17
	s_cbranch_vccz .LBB1_13
; %bb.8:
	s_sub_u32 s16, s2, s4
	s_subb_u32 s17, s3, s5
	v_add_co_u32 v2, vcc_lo, v12, s16
	v_add_co_ci_u32_e32 v3, vcc_lo, s17, v13, vcc_lo
	v_mov_b32_e32 v30, 1
	s_cmp_gt_i32 s10, 1
	v_dual_mov_b32 v31, 0 :: v_dual_mov_b32 v6, s14
	s_delay_alu instid0(VALU_DEP_3) | instskip(SKIP_2) | instid1(SALU_CYCLE_1)
	v_cmp_ge_i64_e32 vcc_lo, s[14:15], v[2:3]
	v_mov_b32_e32 v7, s15
	s_cselect_b32 s14, -1, 0
	s_and_b32 s14, vcc_lo, s14
	s_delay_alu instid0(SALU_CYCLE_1)
	s_and_saveexec_b32 s16, s14
	s_cbranch_execz .LBB1_12
; %bb.9:
	s_add_u32 s0, s0, s22
	s_addc_u32 s1, s1, s23
	s_add_u32 s0, s0, 4
	s_addc_u32 s1, s1, 0
	s_mov_b64 s[14:15], 1
	s_mov_b32 s17, 0
	.p2align	6
.LBB1_10:                               ; =>This Inner Loop Header: Depth=1
	s_load_b32 s18, s[0:1], 0x0
	s_add_u32 s14, s14, 1
	s_addc_u32 s15, s15, 0
	s_delay_alu instid0(SALU_CYCLE_1) | instskip(SKIP_3) | instid1(SALU_CYCLE_1)
	v_cmp_ge_i64_e64 s21, s[14:15], s[10:11]
	v_dual_mov_b32 v31, s15 :: v_dual_mov_b32 v30, s14
	s_waitcnt lgkmcnt(0)
	s_ashr_i32 s19, s18, 31
	v_dual_mov_b32 v6, s18 :: v_dual_mov_b32 v7, s19
	v_cmp_lt_i64_e32 vcc_lo, s[18:19], v[2:3]
	s_or_b32 s18, vcc_lo, s21
	s_add_u32 s0, s0, 4
	s_addc_u32 s1, s1, 0
	s_and_b32 s18, exec_lo, s18
	s_delay_alu instid0(SALU_CYCLE_1) | instskip(NEXT) | instid1(SALU_CYCLE_1)
	s_or_b32 s17, s18, s17
	s_and_not1_b32 exec_lo, exec_lo, s17
	s_cbranch_execnz .LBB1_10
; %bb.11:
	s_or_b32 exec_lo, exec_lo, s17
.LBB1_12:
	s_delay_alu instid0(SALU_CYCLE_1)
	s_or_b32 exec_lo, exec_lo, s16
	v_cmp_ge_i64_e64 s16, v[2:3], v[6:7]
	v_sub_co_u32 v2, vcc_lo, v2, v6
	v_sub_co_ci_u32_e32 v3, vcc_lo, v3, v7, vcc_lo
.LBB1_13:
	s_delay_alu instid0(VALU_DEP_1)
	v_cmp_lt_i64_e32 vcc_lo, s[44:45], v[2:3]
	s_xor_b32 s18, s33, -1
	s_mov_b32 s15, -1
	s_xor_b32 s0, s16, -1
	v_cndmask_b32_e32 v38, s44, v2, vcc_lo
	v_cndmask_b32_e32 v39, s45, v3, vcc_lo
	s_delay_alu instid0(VALU_DEP_2) | instskip(NEXT) | instid1(VALU_DEP_2)
	v_sub_co_u32 v40, vcc_lo, v38, s44
	v_subrev_co_ci_u32_e32 v41, vcc_lo, s45, v39, vcc_lo
	v_dual_mov_b32 v43, v39 :: v_dual_mov_b32 v42, v38
	s_and_saveexec_b32 s14, s0
	s_cbranch_execz .LBB1_18
; %bb.14:
	s_and_b32 vcc_lo, exec_lo, s18
                                        ; implicit-def: $sgpr0_sgpr1
	s_cbranch_vccz .LBB1_16
; %bb.15:
	s_add_u32 s0, s2, s46
	s_addc_u32 s1, s3, s47
	s_mov_b32 s15, 0
.LBB1_16:
	v_dual_mov_b32 v43, s1 :: v_dual_mov_b32 v42, s0
	v_dual_mov_b32 v41, s3 :: v_dual_mov_b32 v40, s2
	s_and_not1_b32 vcc_lo, exec_lo, s15
	s_cbranch_vccnz .LBB1_18
; %bb.17:
	s_sub_u32 s0, s2, s4
	s_subb_u32 s1, s3, s5
	v_add_co_u32 v40, vcc_lo, v12, s0
	v_add_co_ci_u32_e32 v41, vcc_lo, s1, v13, vcc_lo
	s_delay_alu instid0(VALU_DEP_2) | instskip(NEXT) | instid1(VALU_DEP_2)
	v_add_co_u32 v42, vcc_lo, v40, s46
	v_add_co_ci_u32_e32 v43, vcc_lo, s47, v41, vcc_lo
.LBB1_18:
	s_or_b32 exec_lo, exec_lo, s14
	v_mad_u64_u32 v[2:3], null, s13, s42, v[4:5]
	s_mul_i32 s34, s34, s42
	s_mul_i32 s13, s13, s43
	v_add_co_u32 v62, vcc_lo, v12, s2
	v_add_co_ci_u32_e32 v63, vcc_lo, s3, v13, vcc_lo
	s_delay_alu instid0(VALU_DEP_3) | instskip(NEXT) | instid1(VALU_DEP_4)
	v_add3_u32 v3, s13, s34, v3
	v_mul_lo_u32 v6, v2, s49
	v_mad_u64_u32 v[4:5], null, v2, s48, 0
	v_mul_lo_u32 v14, s51, v2
	s_delay_alu instid0(VALU_DEP_4)
	v_mul_lo_u32 v7, v3, s48
	v_mul_lo_u32 v15, s50, v3
	s_waitcnt lgkmcnt(0)
	s_ashr_i32 s13, s12, 31
	s_sub_u32 s0, s2, s4
	s_subb_u32 s1, s3, s5
	v_add_co_u32 v8, vcc_lo, s0, v12
	s_add_u32 s14, s2, s46
	v_add3_u32 v5, v5, v6, v7
	v_mad_u64_u32 v[6:7], null, s50, v2, 0
	v_add_co_ci_u32_e32 v9, vcc_lo, s1, v13, vcc_lo
	s_delay_alu instid0(VALU_DEP_3) | instskip(SKIP_3) | instid1(VALU_DEP_3)
	v_lshlrev_b64 v[4:5], 2, v[4:5]
	s_addc_u32 s15, s3, s47
	s_and_b32 s0, exec_lo, s33
	s_cselect_b32 s0, s4, 0
	v_add3_u32 v7, v7, v15, v14
	s_cselect_b32 s1, s5, 0
	v_add_co_u32 v64, vcc_lo, s38, v4
	v_add_co_ci_u32_e32 v65, vcc_lo, s39, v5, vcc_lo
	v_add_co_u32 v10, vcc_lo, v8, s46
	v_lshlrev_b64 v[6:7], 2, v[6:7]
	s_sub_u32 s0, s14, s0
	v_mov_b32_e32 v4, 0
	v_add_co_ci_u32_e32 v11, vcc_lo, s47, v9, vcc_lo
	v_dual_mov_b32 v5, 0 :: v_dual_mov_b32 v14, s20
	s_subb_u32 s1, s15, s1
	v_add_co_u32 v12, vcc_lo, s0, v12
	v_add_co_ci_u32_e32 v13, vcc_lo, s1, v13, vcc_lo
	v_add_co_u32 v66, vcc_lo, s30, v6
	v_dual_mov_b32 v68, 0 :: v_dual_mov_b32 v49, v5
	v_add_co_ci_u32_e32 v67, vcc_lo, s31, v7, vcc_lo
	v_mov_b32_e32 v48, v4
	s_mov_b32 s50, 0
	s_mov_b64 s[16:17], 1
	s_mov_b32 s1, 0
                                        ; implicit-def: $sgpr19
	s_branch .LBB1_20
.LBB1_19:                               ;   in Loop: Header=BB1_20 Depth=1
	s_or_b32 exec_lo, exec_lo, s21
	s_delay_alu instid0(SALU_CYCLE_1) | instskip(NEXT) | instid1(SALU_CYCLE_1)
	s_and_b32 s0, exec_lo, s0
	s_or_b32 s1, s0, s1
	s_and_not1_b32 s0, s19, exec_lo
	s_and_b32 s19, s20, exec_lo
	s_delay_alu instid0(SALU_CYCLE_1)
	s_or_b32 s19, s0, s19
	s_and_not1_b32 exec_lo, exec_lo, s1
	s_cbranch_execz .LBB1_73
.LBB1_20:                               ; =>This Loop Header: Depth=1
                                        ;     Child Loop BB1_23 Depth 2
                                        ;       Child Loop BB1_31 Depth 3
                                        ;         Child Loop BB1_51 Depth 4
                                        ;         Child Loop BB1_67 Depth 4
	v_cmp_lt_i64_e64 s21, s[16:17], s[12:13]
	s_waitcnt vmcnt(0)
	v_ashrrev_i32_e32 v15, 31, v14
	v_dual_mov_b32 v61, v49 :: v_dual_mov_b32 v60, v48
	v_dual_mov_b32 v57, v31 :: v_dual_mov_b32 v56, v30
	;; [unrolled: 1-line block ×5, first 2 shown]
	s_cmp_lg_u64 s[16:17], s[12:13]
	s_mov_b32 s23, 0
	s_cselect_b32 s24, -1, 0
                                        ; implicit-def: $sgpr25
                                        ; implicit-def: $sgpr22
                                        ; implicit-def: $sgpr20
                                        ; implicit-def: $sgpr27
                                        ; implicit-def: $sgpr26
	s_branch .LBB1_23
.LBB1_21:                               ;   in Loop: Header=BB1_23 Depth=2
	s_or_b32 exec_lo, exec_lo, s0
	s_delay_alu instid0(SALU_CYCLE_1)
	s_and_b32 s50, s35, exec_lo
	s_and_not1_b32 s0, s27, exec_lo
	s_and_not1_b32 s34, s34, exec_lo
	v_dual_mov_b32 v48, v60 :: v_dual_mov_b32 v49, v61
	v_dual_mov_b32 v30, v56 :: v_dual_mov_b32 v31, v57
	;; [unrolled: 1-line block ×5, first 2 shown]
	s_and_not1_b32 s26, s26, exec_lo
	s_or_b32 s27, s0, s50
	s_or_not1_b32 s0, s21, exec_lo
                                        ; implicit-def: $vgpr50_vgpr51
                                        ; implicit-def: $vgpr46_vgpr47
                                        ; implicit-def: $vgpr44_vgpr45
                                        ; implicit-def: $vgpr16_vgpr17
.LBB1_22:                               ;   in Loop: Header=BB1_23 Depth=2
	s_or_b32 exec_lo, exec_lo, s38
	s_xor_b32 s34, s34, -1
	s_and_b32 s0, exec_lo, s0
	v_dual_mov_b32 v15, v13 :: v_dual_mov_b32 v14, v12
	s_or_b32 s23, s0, s23
	s_and_not1_b32 s0, s20, exec_lo
	s_and_b32 s20, s26, exec_lo
	s_and_not1_b32 s22, s22, exec_lo
	s_or_b32 s20, s0, s20
	s_and_b32 s0, s27, exec_lo
	s_and_not1_b32 s25, s25, exec_lo
	s_and_b32 s34, s34, exec_lo
	s_or_b32 s22, s22, s0
	s_or_b32 s25, s25, s34
	s_and_not1_b32 exec_lo, exec_lo, s23
	s_cbranch_execz .LBB1_71
.LBB1_23:                               ;   Parent Loop BB1_20 Depth=1
                                        ; =>  This Loop Header: Depth=2
                                        ;       Child Loop BB1_31 Depth 3
                                        ;         Child Loop BB1_51 Depth 4
                                        ;         Child Loop BB1_67 Depth 4
	v_dual_mov_b32 v16, v60 :: v_dual_mov_b32 v17, v61
	v_dual_mov_b32 v18, v56 :: v_dual_mov_b32 v19, v57
	;; [unrolled: 1-line block ×5, first 2 shown]
	s_mov_b32 s40, 0
                                        ; implicit-def: $sgpr35
                                        ; implicit-def: $sgpr34
                                        ; implicit-def: $sgpr41
                                        ; implicit-def: $sgpr39
                                        ; implicit-def: $sgpr38
                                        ; implicit-def: $sgpr48
                                        ; implicit-def: $sgpr49
                                        ; implicit-def: $sgpr42
                                        ; implicit-def: $sgpr47
                                        ; implicit-def: $sgpr43
	s_branch .LBB1_31
.LBB1_24:                               ;   in Loop: Header=BB1_31 Depth=3
	s_or_b32 exec_lo, exec_lo, s63
.LBB1_25:                               ;   in Loop: Header=BB1_31 Depth=3
	s_delay_alu instid0(SALU_CYCLE_1)
	s_or_b32 exec_lo, exec_lo, s62
.LBB1_26:                               ;   in Loop: Header=BB1_31 Depth=3
	s_delay_alu instid0(SALU_CYCLE_1)
	s_or_b32 exec_lo, exec_lo, s61
	v_sub_co_u32 v34, vcc_lo, v32, s44
	v_subrev_co_ci_u32_e32 v35, vcc_lo, s45, v33, vcc_lo
	v_dual_mov_b32 v37, v33 :: v_dual_mov_b32 v36, v32
	s_and_not1_b32 s0, s56, exec_lo
	s_and_b32 s56, s53, exec_lo
	s_delay_alu instid0(SALU_CYCLE_1)
	s_or_b32 s56, s0, s56
.LBB1_27:                               ;   in Loop: Header=BB1_31 Depth=3
	s_or_b32 exec_lo, exec_lo, s60
	s_delay_alu instid0(SALU_CYCLE_1) | instskip(SKIP_1) | instid1(SALU_CYCLE_1)
	s_and_not1_b32 s0, s53, exec_lo
	s_and_b32 s53, s56, exec_lo
	s_or_b32 s53, s0, s53
.LBB1_28:                               ;   in Loop: Header=BB1_31 Depth=3
	s_or_b32 exec_lo, exec_lo, s55
	s_delay_alu instid0(SALU_CYCLE_1)
	s_and_b32 s0, s53, exec_lo
	s_and_not1_b32 s57, s57, exec_lo
	s_xor_b32 s55, exec_lo, -1
.LBB1_29:                               ;   in Loop: Header=BB1_31 Depth=3
	s_or_b32 exec_lo, exec_lo, s50
	s_delay_alu instid0(SALU_CYCLE_1)
	s_and_not1_b32 s43, s43, exec_lo
	s_and_b32 s0, s0, exec_lo
	s_and_not1_b32 s42, s42, exec_lo
	s_or_b32 s43, s43, s0
	s_and_not1_b32 s0, s47, exec_lo
	s_and_b32 s47, s58, exec_lo
	s_and_b32 s50, s59, exec_lo
	v_dual_mov_b32 v43, v25 :: v_dual_mov_b32 v42, v24
	v_dual_mov_b32 v41, v23 :: v_dual_mov_b32 v40, v22
	;; [unrolled: 1-line block ×8, first 2 shown]
	s_or_b32 s47, s0, s47
	s_or_b32 s42, s42, s50
	s_and_not1_b32 s0, s49, exec_lo
	s_and_b32 s49, s57, exec_lo
	s_and_not1_b32 s48, s48, exec_lo
	s_and_b32 s50, s55, exec_lo
	s_or_b32 s49, s0, s49
	s_or_b32 s48, s48, s50
                                        ; implicit-def: $sgpr50
.LBB1_30:                               ;   in Loop: Header=BB1_31 Depth=3
	s_or_b32 exec_lo, exec_lo, s51
	s_delay_alu instid0(SALU_CYCLE_1)
	s_and_b32 s0, exec_lo, s48
	v_dual_mov_b32 v53, v25 :: v_dual_mov_b32 v52, v24
	s_or_b32 s40, s0, s40
	s_and_not1_b32 s0, s50, exec_lo
	s_and_b32 s50, s43, exec_lo
	s_and_not1_b32 s38, s38, exec_lo
	s_and_b32 s51, s47, exec_lo
	s_or_b32 s50, s0, s50
	s_or_b32 s38, s38, s51
	s_and_not1_b32 s0, s39, exec_lo
	s_and_b32 s39, s42, exec_lo
	s_and_not1_b32 s41, s41, exec_lo
	s_and_b32 s51, s54, exec_lo
	v_dual_mov_b32 v55, v23 :: v_dual_mov_b32 v54, v22
	v_dual_mov_b32 v59, v21 :: v_dual_mov_b32 v58, v20
	;; [unrolled: 1-line block ×9, first 2 shown]
	s_or_b32 s39, s0, s39
	s_or_b32 s41, s41, s51
	s_and_not1_b32 s0, s34, exec_lo
	s_and_b32 s34, s52, exec_lo
	s_and_not1_b32 s35, s35, exec_lo
	s_and_b32 s51, s49, exec_lo
	s_or_b32 s34, s0, s34
	s_or_b32 s35, s35, s51
	s_and_not1_b32 exec_lo, exec_lo, s40
	s_cbranch_execz .LBB1_68
.LBB1_31:                               ;   Parent Loop BB1_20 Depth=1
                                        ;     Parent Loop BB1_23 Depth=2
                                        ; =>    This Loop Header: Depth=3
                                        ;         Child Loop BB1_51 Depth 4
                                        ;         Child Loop BB1_67 Depth 4
	s_delay_alu instid0(VALU_DEP_1)
	v_cmp_ge_i64_e32 vcc_lo, v[14:15], v[24:25]
	s_and_not1_b32 s0, s49, exec_lo
	s_and_b32 s49, s50, exec_lo
	s_and_not1_b32 s43, s43, exec_lo
	s_or_b32 s47, s47, exec_lo
	s_and_not1_b32 s42, s42, exec_lo
	s_or_b32 s49, s0, s49
	s_or_b32 s48, s48, exec_lo
                                        ; implicit-def: $vgpr36_vgpr37
                                        ; implicit-def: $vgpr34_vgpr35
                                        ; implicit-def: $vgpr32_vgpr33
                                        ; implicit-def: $vgpr28_vgpr29
                                        ; implicit-def: $vgpr26_vgpr27
                                        ; implicit-def: $vgpr42_vgpr43
                                        ; implicit-def: $vgpr40_vgpr41
                                        ; implicit-def: $vgpr38_vgpr39
                                        ; implicit-def: $vgpr30_vgpr31
                                        ; implicit-def: $vgpr48_vgpr49
                                        ; implicit-def: $sgpr54
                                        ; implicit-def: $vgpr44_vgpr45
                                        ; implicit-def: $vgpr46_vgpr47
                                        ; implicit-def: $vgpr50_vgpr51
                                        ; implicit-def: $sgpr52
	s_and_saveexec_b32 s51, vcc_lo
	s_cbranch_execz .LBB1_30
; %bb.32:                               ;   in Loop: Header=BB1_31 Depth=3
	v_cmp_le_i64_e32 vcc_lo, s[10:11], v[18:19]
	s_mov_b32 s61, 0
	s_mov_b32 s52, 0
                                        ; implicit-def: $vgpr30_vgpr31
	s_or_b32 s0, vcc_lo, s18
	s_delay_alu instid0(SALU_CYCLE_1) | instskip(NEXT) | instid1(SALU_CYCLE_1)
	s_xor_b32 s0, s0, -1
	s_and_saveexec_b32 s53, s0
	s_delay_alu instid0(SALU_CYCLE_1)
	s_xor_b32 s53, exec_lo, s53
	s_cbranch_execz .LBB1_34
; %bb.33:                               ;   in Loop: Header=BB1_31 Depth=3
	v_lshlrev_b64 v[26:27], 2, v[18:19]
	s_mov_b32 s52, exec_lo
	s_delay_alu instid0(VALU_DEP_1) | instskip(NEXT) | instid1(VALU_DEP_1)
	v_add_co_u32 v26, s0, s8, v26
	v_add_co_ci_u32_e64 v27, s0, s9, v27, s0
	global_load_b32 v30, v[26:27], off
	s_waitcnt vmcnt(0)
	v_ashrrev_i32_e32 v31, 31, v30
	s_and_not1_saveexec_b32 s53, s53
	s_cbranch_execz .LBB1_38
	s_branch .LBB1_35
.LBB1_34:                               ;   in Loop: Header=BB1_31 Depth=3
	s_and_not1_saveexec_b32 s53, s53
	s_cbranch_execz .LBB1_38
.LBB1_35:                               ;   in Loop: Header=BB1_31 Depth=3
	s_or_b32 s54, vcc_lo, s33
	s_mov_b32 s0, -1
	s_xor_b32 s56, s54, -1
	s_mov_b32 s55, s52
                                        ; implicit-def: $vgpr30_vgpr31
	s_and_saveexec_b32 s54, s56
	s_cbranch_execz .LBB1_37
; %bb.36:                               ;   in Loop: Header=BB1_31 Depth=3
	v_lshlrev_b64 v[26:27], 2, v[18:19]
	s_and_not1_b32 s55, s52, exec_lo
	s_delay_alu instid0(VALU_DEP_1) | instskip(NEXT) | instid1(VALU_DEP_2)
	v_add_co_u32 v26, vcc_lo, s8, v26
	v_add_co_ci_u32_e32 v27, vcc_lo, s9, v27, vcc_lo
	global_load_b32 v30, v[26:27], off
	s_waitcnt vmcnt(0)
	v_ashrrev_i32_e32 v31, 31, v30
	s_delay_alu instid0(VALU_DEP_1) | instskip(SKIP_2) | instid1(VALU_DEP_1)
	v_cmp_le_i64_e32 vcc_lo, v[0:1], v[30:31]
	v_cmp_gt_i64_e64 s0, v[0:1], v[30:31]
	s_and_b32 s56, vcc_lo, exec_lo
	s_or_not1_b32 s0, s0, exec_lo
	s_or_b32 s55, s55, s56
.LBB1_37:                               ;   in Loop: Header=BB1_31 Depth=3
	s_or_b32 exec_lo, exec_lo, s54
	s_delay_alu instid0(SALU_CYCLE_1)
	s_and_not1_b32 s52, s52, exec_lo
	s_and_b32 s54, s55, exec_lo
	s_and_b32 s61, s0, exec_lo
	s_or_b32 s52, s52, s54
.LBB1_38:                               ;   in Loop: Header=BB1_31 Depth=3
	s_or_b32 exec_lo, exec_lo, s53
	s_mov_b32 s56, 0
                                        ; implicit-def: $sgpr53
                                        ; implicit-def: $vgpr36_vgpr37
                                        ; implicit-def: $vgpr34_vgpr35
                                        ; implicit-def: $vgpr32_vgpr33
                                        ; implicit-def: $vgpr28_vgpr29
                                        ; implicit-def: $vgpr26_vgpr27
	s_and_saveexec_b32 s0, s52
	s_cbranch_execz .LBB1_44
; %bb.39:                               ;   in Loop: Header=BB1_31 Depth=3
	v_add_co_u32 v28, vcc_lo, v18, 1
	v_add_co_ci_u32_e32 v29, vcc_lo, 0, v19, vcc_lo
	s_and_b32 vcc_lo, exec_lo, s18
	s_cbranch_vccz .LBB1_41
; %bb.40:                               ;   in Loop: Header=BB1_31 Depth=3
	v_sub_co_u32 v26, vcc_lo, v62, v30
	v_sub_co_ci_u32_e32 v27, vcc_lo, v63, v31, vcc_lo
	s_and_b32 s52, s50, exec_lo
	s_delay_alu instid0(VALU_DEP_1)
	v_cmp_lt_i64_e32 vcc_lo, s[44:45], v[26:27]
	v_cndmask_b32_e32 v33, s45, v27, vcc_lo
	v_cndmask_b32_e32 v32, s44, v26, vcc_lo
	s_cbranch_execz .LBB1_42
	s_branch .LBB1_43
.LBB1_41:                               ;   in Loop: Header=BB1_31 Depth=3
                                        ; implicit-def: $sgpr52
                                        ; implicit-def: $vgpr32_vgpr33
.LBB1_42:                               ;   in Loop: Header=BB1_31 Depth=3
	v_add_co_u32 v26, vcc_lo, s4, v30
	v_add_co_ci_u32_e32 v27, vcc_lo, s5, v31, vcc_lo
	s_and_not1_b32 s52, s52, exec_lo
	s_delay_alu instid0(VALU_DEP_2) | instskip(NEXT) | instid1(VALU_DEP_2)
	v_sub_co_u32 v26, vcc_lo, v62, v26
	v_sub_co_ci_u32_e32 v27, vcc_lo, v63, v27, vcc_lo
	s_and_b32 s53, s50, exec_lo
	s_delay_alu instid0(SALU_CYCLE_1) | instskip(NEXT) | instid1(VALU_DEP_1)
	s_or_b32 s52, s52, s53
	v_cmp_lt_i64_e32 vcc_lo, s[44:45], v[26:27]
	v_cndmask_b32_e32 v33, s45, v27, vcc_lo
	v_cndmask_b32_e32 v32, s44, v26, vcc_lo
.LBB1_43:                               ;   in Loop: Header=BB1_31 Depth=3
	v_dual_mov_b32 v37, v25 :: v_dual_mov_b32 v36, v24
	v_dual_mov_b32 v35, v23 :: v_dual_mov_b32 v34, v22
	;; [unrolled: 1-line block ×3, first 2 shown]
	s_mov_b32 s56, exec_lo
	s_and_b32 s53, s52, exec_lo
.LBB1_44:                               ;   in Loop: Header=BB1_31 Depth=3
	s_or_b32 exec_lo, exec_lo, s0
	s_mov_b32 s55, -1
	s_mov_b32 s58, -1
                                        ; implicit-def: $sgpr57
                                        ; implicit-def: $sgpr59
                                        ; implicit-def: $sgpr54
                                        ; implicit-def: $sgpr52
	s_and_saveexec_b32 s60, s61
	s_cbranch_execz .LBB1_59
; %bb.45:                               ;   in Loop: Header=BB1_31 Depth=3
	s_and_b32 vcc_lo, exec_lo, s24
	s_mov_b32 s52, -1
	s_cbranch_vccz .LBB1_57
; %bb.46:                               ;   in Loop: Header=BB1_31 Depth=3
	v_cmp_le_i64_e32 vcc_lo, v[14:15], v[22:23]
	s_mov_b32 s61, s56
	s_mov_b32 s0, s50
                                        ; implicit-def: $sgpr62
                                        ; implicit-def: $vgpr36_vgpr37
                                        ; implicit-def: $vgpr34_vgpr35
                                        ; implicit-def: $vgpr26_vgpr27
	s_or_b32 s57, vcc_lo, s18
	s_delay_alu instid0(SALU_CYCLE_1)
	s_and_saveexec_b32 s54, s57
	s_cbranch_execz .LBB1_56
; %bb.47:                               ;   in Loop: Header=BB1_31 Depth=3
	v_dual_mov_b32 v37, v11 :: v_dual_mov_b32 v36, v10
	v_dual_mov_b32 v35, v9 :: v_dual_mov_b32 v34, v8
	;; [unrolled: 1-line block ×3, first 2 shown]
	s_and_not1_b32 vcc_lo, exec_lo, s18
	s_cbranch_vccnz .LBB1_55
; %bb.48:                               ;   in Loop: Header=BB1_31 Depth=3
	v_dual_mov_b32 v27, v17 :: v_dual_mov_b32 v26, v16
	s_mov_b32 s57, exec_lo
	v_cmpx_gt_i64_e64 s[2:3], v[22:23]
	s_cbranch_execz .LBB1_54
; %bb.49:                               ;   in Loop: Header=BB1_31 Depth=3
	v_cmp_gt_i64_e32 vcc_lo, s[2:3], v[24:25]
	v_ashrrev_i32_e32 v31, 31, v22
	s_mov_b32 s58, exec_lo
	v_dual_mov_b32 v27, v17 :: v_dual_mov_b32 v30, v22
	v_mov_b32_e32 v26, v16
	v_cndmask_b32_e32 v28, s2, v24, vcc_lo
	v_cndmask_b32_e32 v29, s3, v25, vcc_lo
	s_delay_alu instid0(VALU_DEP_1)
	v_cmpx_lt_i64_e64 v[30:31], v[28:29]
	s_cbranch_execz .LBB1_53
; %bb.50:                               ;   in Loop: Header=BB1_31 Depth=3
	v_lshlrev_b64 v[26:27], 2, v[16:17]
	v_dual_mov_b32 v35, v23 :: v_dual_mov_b32 v34, v22
	s_mov_b32 s59, 0
	s_delay_alu instid0(VALU_DEP_2) | instskip(NEXT) | instid1(VALU_DEP_3)
	v_add_co_u32 v32, vcc_lo, v66, v26
	v_add_co_ci_u32_e32 v33, vcc_lo, v67, v27, vcc_lo
	v_dual_mov_b32 v27, v17 :: v_dual_mov_b32 v26, v16
	.p2align	6
.LBB1_51:                               ;   Parent Loop BB1_20 Depth=1
                                        ;     Parent Loop BB1_23 Depth=2
                                        ;       Parent Loop BB1_31 Depth=3
                                        ; =>      This Inner Loop Header: Depth=4
	v_add_co_u32 v30, vcc_lo, v30, s46
	s_delay_alu instid0(VALU_DEP_2) | instskip(NEXT) | instid1(VALU_DEP_3)
	v_add_co_u32 v26, vcc_lo, v26, 1
	v_add_co_ci_u32_e32 v27, vcc_lo, 0, v27, vcc_lo
	s_delay_alu instid0(VALU_DEP_3) | instskip(SKIP_2) | instid1(VALU_DEP_1)
	v_ashrrev_i32_e32 v31, 31, v30
	global_store_b32 v[32:33], v34, off
	v_add_co_u32 v32, s0, v32, 4
	v_add_co_ci_u32_e64 v33, s0, 0, v33, s0
	v_cmp_ge_i64_e32 vcc_lo, v[30:31], v[28:29]
	v_dual_mov_b32 v35, v31 :: v_dual_mov_b32 v34, v30
	s_or_b32 s59, vcc_lo, s59
	s_delay_alu instid0(SALU_CYCLE_1)
	s_and_not1_b32 exec_lo, exec_lo, s59
	s_cbranch_execnz .LBB1_51
; %bb.52:                               ;   in Loop: Header=BB1_31 Depth=3
	s_or_b32 exec_lo, exec_lo, s59
.LBB1_53:                               ;   in Loop: Header=BB1_31 Depth=3
	s_delay_alu instid0(SALU_CYCLE_1)
	s_or_b32 exec_lo, exec_lo, s58
.LBB1_54:                               ;   in Loop: Header=BB1_31 Depth=3
	s_delay_alu instid0(SALU_CYCLE_1)
	s_or_b32 exec_lo, exec_lo, s57
	v_dual_mov_b32 v37, s15 :: v_dual_mov_b32 v36, s14
	v_dual_mov_b32 v35, s3 :: v_dual_mov_b32 v34, s2
.LBB1_55:                               ;   in Loop: Header=BB1_31 Depth=3
	s_mov_b32 s62, -1
	s_and_not1_b32 s0, s50, exec_lo
	s_or_b32 s61, s56, exec_lo
.LBB1_56:                               ;   in Loop: Header=BB1_31 Depth=3
	s_or_b32 exec_lo, exec_lo, s54
	v_dual_mov_b32 v33, v21 :: v_dual_mov_b32 v32, v20
	v_dual_mov_b32 v29, v19 :: v_dual_mov_b32 v28, v18
	s_mov_b32 s54, 0
	s_branch .LBB1_58
.LBB1_57:                               ;   in Loop: Header=BB1_31 Depth=3
	s_mov_b32 s54, -1
	s_mov_b32 s0, s50
	s_mov_b32 s61, s56
                                        ; implicit-def: $sgpr62
                                        ; implicit-def: $vgpr36_vgpr37
                                        ; implicit-def: $vgpr34_vgpr35
                                        ; implicit-def: $vgpr32_vgpr33
                                        ; implicit-def: $vgpr28_vgpr29
                                        ; implicit-def: $vgpr26_vgpr27
.LBB1_58:                               ;   in Loop: Header=BB1_31 Depth=3
	s_and_b32 s59, s50, exec_lo
	s_and_b32 s57, s0, exec_lo
	s_and_not1_b32 s0, s53, exec_lo
	s_and_b32 s50, s62, exec_lo
	s_and_not1_b32 s56, s56, exec_lo
	s_and_b32 s61, s61, exec_lo
	s_xor_b32 s58, exec_lo, -1
	s_or_b32 s53, s0, s50
	s_or_b32 s56, s56, s61
.LBB1_59:                               ;   in Loop: Header=BB1_31 Depth=3
	s_or_b32 exec_lo, exec_lo, s60
                                        ; implicit-def: $sgpr0
	s_and_saveexec_b32 s50, s56
	s_cbranch_execz .LBB1_29
; %bb.60:                               ;   in Loop: Header=BB1_31 Depth=3
	s_xor_b32 s0, s53, -1
	s_delay_alu instid0(SALU_CYCLE_1) | instskip(NEXT) | instid1(SALU_CYCLE_1)
	s_and_saveexec_b32 s55, s0
	s_xor_b32 s55, exec_lo, s55
	s_cbranch_execz .LBB1_28
; %bb.61:                               ;   in Loop: Header=BB1_31 Depth=3
	v_add_co_u32 v30, vcc_lo, v36, s44
	v_add_co_ci_u32_e32 v31, vcc_lo, s45, v37, vcc_lo
	s_mov_b32 s0, exec_lo
                                        ; implicit-def: $sgpr56
	s_delay_alu instid0(VALU_DEP_1)
	v_cmpx_le_i64_e64 v[32:33], v[30:31]
	s_xor_b32 s0, exec_lo, s0
; %bb.62:                               ;   in Loop: Header=BB1_31 Depth=3
	v_cmp_gt_i64_e32 vcc_lo, v[32:33], v[36:37]
	s_and_b32 s56, s53, exec_lo
	v_dual_cndmask_b32 v37, v37, v31 :: v_dual_cndmask_b32 v36, v36, v30
; %bb.63:                               ;   in Loop: Header=BB1_31 Depth=3
	s_and_not1_saveexec_b32 s60, s0
	s_cbranch_execz .LBB1_27
; %bb.64:                               ;   in Loop: Header=BB1_31 Depth=3
	s_mov_b32 s61, exec_lo
	v_cmpx_gt_i64_e64 s[2:3], v[34:35]
	s_cbranch_execz .LBB1_26
; %bb.65:                               ;   in Loop: Header=BB1_31 Depth=3
	v_cmp_gt_i64_e32 vcc_lo, s[2:3], v[36:37]
	v_ashrrev_i32_e32 v35, 31, v34
	s_mov_b32 s62, exec_lo
	v_cndmask_b32_e32 v31, s3, v37, vcc_lo
	v_cndmask_b32_e32 v30, s2, v36, vcc_lo
	s_delay_alu instid0(VALU_DEP_1)
	v_cmpx_lt_i64_e64 v[34:35], v[30:31]
	s_cbranch_execz .LBB1_25
; %bb.66:                               ;   in Loop: Header=BB1_31 Depth=3
	v_lshlrev_b64 v[36:37], 2, v[26:27]
	s_mov_b32 s63, 0
	s_delay_alu instid0(VALU_DEP_1) | instskip(NEXT) | instid1(VALU_DEP_2)
	v_add_co_u32 v36, vcc_lo, v66, v36
	v_add_co_ci_u32_e32 v37, vcc_lo, v67, v37, vcc_lo
	.p2align	6
.LBB1_67:                               ;   Parent Loop BB1_20 Depth=1
                                        ;     Parent Loop BB1_23 Depth=2
                                        ;       Parent Loop BB1_31 Depth=3
                                        ; =>      This Inner Loop Header: Depth=4
	global_store_b32 v[36:37], v34, off
	v_add_co_u32 v34, vcc_lo, v34, s46
	v_add_co_u32 v26, vcc_lo, v26, 1
	v_add_co_ci_u32_e32 v27, vcc_lo, 0, v27, vcc_lo
	s_delay_alu instid0(VALU_DEP_3) | instskip(SKIP_1) | instid1(VALU_DEP_1)
	v_ashrrev_i32_e32 v35, 31, v34
	v_add_co_u32 v36, s0, v36, 4
	v_add_co_ci_u32_e64 v37, s0, 0, v37, s0
	s_delay_alu instid0(VALU_DEP_3) | instskip(SKIP_1) | instid1(SALU_CYCLE_1)
	v_cmp_ge_i64_e32 vcc_lo, v[34:35], v[30:31]
	s_or_b32 s63, vcc_lo, s63
	s_and_not1_b32 exec_lo, exec_lo, s63
	s_cbranch_execnz .LBB1_67
	s_branch .LBB1_24
.LBB1_68:                               ;   in Loop: Header=BB1_23 Depth=2
	s_or_b32 exec_lo, exec_lo, s40
	v_dual_mov_b32 v17, v15 :: v_dual_mov_b32 v16, v14
	s_and_not1_b32 s26, s26, exec_lo
	s_and_b32 s40, s41, exec_lo
	s_and_not1_b32 s27, s27, exec_lo
	s_and_b32 s39, s39, exec_lo
	s_mov_b32 s0, -1
	s_or_b32 s26, s26, s40
	s_or_b32 s27, s27, s39
                                        ; implicit-def: $sgpr50
	s_and_saveexec_b32 s39, s38
	s_delay_alu instid0(SALU_CYCLE_1)
	s_xor_b32 s38, exec_lo, s39
	s_cbranch_execz .LBB1_22
; %bb.69:                               ;   in Loop: Header=BB1_23 Depth=2
	s_mov_b32 s0, exec_lo
	v_cmpx_lt_i64_e64 v[14:15], v[54:55]
	s_cbranch_execz .LBB1_21
; %bb.70:                               ;   in Loop: Header=BB1_23 Depth=2
	v_lshlrev_b64 v[15:16], 2, v[4:5]
	s_delay_alu instid0(VALU_DEP_1) | instskip(NEXT) | instid1(VALU_DEP_2)
	v_add_co_u32 v15, vcc_lo, v64, v15
	v_add_co_ci_u32_e32 v16, vcc_lo, v65, v16, vcc_lo
	v_add_co_u32 v4, vcc_lo, v4, 1
	v_add_co_ci_u32_e32 v5, vcc_lo, 0, v5, vcc_lo
	global_store_b32 v[15:16], v14, off
	s_branch .LBB1_21
.LBB1_71:                               ;   in Loop: Header=BB1_20 Depth=1
	s_or_b32 exec_lo, exec_lo, s23
	s_mov_b32 s0, -1
                                        ; implicit-def: $sgpr50
                                        ; implicit-def: $vgpr14
	s_and_saveexec_b32 s21, s25
	s_delay_alu instid0(SALU_CYCLE_1)
	s_xor_b32 s21, exec_lo, s21
	s_cbranch_execz .LBB1_19
; %bb.72:                               ;   in Loop: Header=BB1_20 Depth=1
	s_add_u32 s24, s16, 1
	s_addc_u32 s25, s17, 0
	s_lshl_b64 s[16:17], s[16:17], 2
	s_delay_alu instid0(SALU_CYCLE_1)
	s_add_u32 s16, s6, s16
	s_addc_u32 s17, s7, s17
	s_and_b32 s50, s22, exec_lo
	global_load_b32 v14, v68, s[16:17]
	s_xor_b32 s0, exec_lo, -1
	s_mov_b64 s[16:17], s[24:25]
	s_branch .LBB1_19
.LBB1_73:
	s_or_b32 exec_lo, exec_lo, s1
	s_and_saveexec_b32 s0, s19
	s_delay_alu instid0(SALU_CYCLE_1)
	s_xor_b32 s0, exec_lo, s0
	s_cbranch_execz .LBB1_77
; %bb.74:
	v_cmp_gt_i64_e32 vcc_lo, s[2:3], v[16:17]
	s_and_b32 s4, s18, vcc_lo
	s_delay_alu instid0(SALU_CYCLE_1)
	s_and_saveexec_b32 s1, s4
	s_cbranch_execz .LBB1_76
; %bb.75:
	v_lshlrev_b64 v[0:1], 2, v[4:5]
	v_add_co_u32 v4, vcc_lo, v4, 1
	s_delay_alu instid0(VALU_DEP_2) | instskip(NEXT) | instid1(VALU_DEP_3)
	v_add_co_u32 v0, vcc_lo, v64, v0
	v_add_co_ci_u32_e32 v1, vcc_lo, v65, v1, vcc_lo
	global_store_b32 v[0:1], v16, off
.LBB1_76:
	s_or_b32 exec_lo, exec_lo, s1
.LBB1_77:
	s_delay_alu instid0(SALU_CYCLE_1) | instskip(NEXT) | instid1(SALU_CYCLE_1)
	s_or_b32 exec_lo, exec_lo, s0
	s_mov_b32 s1, exec_lo
	v_cmpx_gt_i64_e64 s[2:3], v[46:47]
	s_cbranch_execz .LBB1_83
; %bb.78:
	v_cmp_gt_i64_e32 vcc_lo, s[2:3], v[50:51]
	v_ashrrev_i32_e32 v47, 31, v46
	v_cndmask_b32_e32 v1, s3, v51, vcc_lo
	v_cndmask_b32_e32 v0, s2, v50, vcc_lo
	s_mov_b32 s2, exec_lo
	s_delay_alu instid0(VALU_DEP_1)
	v_cmpx_lt_i64_e64 v[46:47], v[0:1]
	s_cbranch_execz .LBB1_82
; %bb.79:
	v_lshlrev_b64 v[8:9], 2, v[44:45]
	s_mov_b32 s3, 0
	s_delay_alu instid0(VALU_DEP_1) | instskip(NEXT) | instid1(VALU_DEP_2)
	v_add_co_u32 v5, vcc_lo, v6, v8
	v_add_co_ci_u32_e32 v6, vcc_lo, v7, v9, vcc_lo
	s_delay_alu instid0(VALU_DEP_2) | instskip(NEXT) | instid1(VALU_DEP_2)
	v_add_co_u32 v5, vcc_lo, s30, v5
	v_add_co_ci_u32_e32 v6, vcc_lo, s31, v6, vcc_lo
.LBB1_80:                               ; =>This Inner Loop Header: Depth=1
	global_store_b32 v[5:6], v46, off
	v_add_co_u32 v46, vcc_lo, v46, s46
	v_add_co_u32 v44, vcc_lo, v44, 1
	v_add_co_ci_u32_e32 v45, vcc_lo, 0, v45, vcc_lo
	s_delay_alu instid0(VALU_DEP_3) | instskip(SKIP_1) | instid1(VALU_DEP_1)
	v_ashrrev_i32_e32 v47, 31, v46
	v_add_co_u32 v5, s0, v5, 4
	v_add_co_ci_u32_e64 v6, s0, 0, v6, s0
	s_delay_alu instid0(VALU_DEP_3) | instskip(SKIP_1) | instid1(SALU_CYCLE_1)
	v_cmp_ge_i64_e32 vcc_lo, v[46:47], v[0:1]
	s_or_b32 s3, vcc_lo, s3
	s_and_not1_b32 exec_lo, exec_lo, s3
	s_cbranch_execnz .LBB1_80
; %bb.81:
	s_or_b32 exec_lo, exec_lo, s3
.LBB1_82:
	s_delay_alu instid0(SALU_CYCLE_1)
	s_or_b32 exec_lo, exec_lo, s2
.LBB1_83:
	s_delay_alu instid0(SALU_CYCLE_1) | instskip(SKIP_1) | instid1(VALU_DEP_1)
	s_or_b32 exec_lo, exec_lo, s1
	v_lshlrev_b64 v[0:1], 2, v[2:3]
	v_add_co_u32 v2, vcc_lo, s28, v0
	s_delay_alu instid0(VALU_DEP_2)
	v_add_co_ci_u32_e32 v3, vcc_lo, s29, v1, vcc_lo
	v_add_co_u32 v0, vcc_lo, s36, v0
	v_add_co_ci_u32_e32 v1, vcc_lo, s37, v1, vcc_lo
	global_store_b32 v[2:3], v44, off
	global_store_b32 v[0:1], v4, off
.LBB1_84:
	s_nop 0
	s_sendmsg sendmsg(MSG_DEALLOC_VGPRS)
	s_endpgm
	.section	.rodata,"a",@progbits
	.p2align	6, 0x0
	.amdhsa_kernel _Z47convert_vertical_slash_indexes_kernel_mergeheadPKiS0_S0_S0_S0_S0_PiS1_S1_S1_llllllb
		.amdhsa_group_segment_fixed_size 0
		.amdhsa_private_segment_fixed_size 0
		.amdhsa_kernarg_size 392
		.amdhsa_user_sgpr_count 13
		.amdhsa_user_sgpr_dispatch_ptr 0
		.amdhsa_user_sgpr_queue_ptr 0
		.amdhsa_user_sgpr_kernarg_segment_ptr 1
		.amdhsa_user_sgpr_dispatch_id 0
		.amdhsa_user_sgpr_private_segment_size 0
		.amdhsa_wavefront_size32 1
		.amdhsa_uses_dynamic_stack 0
		.amdhsa_enable_private_segment 0
		.amdhsa_system_sgpr_workgroup_id_x 1
		.amdhsa_system_sgpr_workgroup_id_y 1
		.amdhsa_system_sgpr_workgroup_id_z 1
		.amdhsa_system_sgpr_workgroup_info 0
		.amdhsa_system_vgpr_workitem_id 0
		.amdhsa_next_free_vgpr 69
		.amdhsa_next_free_sgpr 64
		.amdhsa_reserve_vcc 1
		.amdhsa_float_round_mode_32 0
		.amdhsa_float_round_mode_16_64 0
		.amdhsa_float_denorm_mode_32 3
		.amdhsa_float_denorm_mode_16_64 3
		.amdhsa_dx10_clamp 1
		.amdhsa_ieee_mode 1
		.amdhsa_fp16_overflow 0
		.amdhsa_workgroup_processor_mode 1
		.amdhsa_memory_ordered 1
		.amdhsa_forward_progress 0
		.amdhsa_shared_vgpr_count 0
		.amdhsa_exception_fp_ieee_invalid_op 0
		.amdhsa_exception_fp_denorm_src 0
		.amdhsa_exception_fp_ieee_div_zero 0
		.amdhsa_exception_fp_ieee_overflow 0
		.amdhsa_exception_fp_ieee_underflow 0
		.amdhsa_exception_fp_ieee_inexact 0
		.amdhsa_exception_int_div_zero 0
	.end_amdhsa_kernel
	.text
.Lfunc_end1:
	.size	_Z47convert_vertical_slash_indexes_kernel_mergeheadPKiS0_S0_S0_S0_S0_PiS1_S1_S1_llllllb, .Lfunc_end1-_Z47convert_vertical_slash_indexes_kernel_mergeheadPKiS0_S0_S0_S0_S0_PiS1_S1_S1_llllllb
                                        ; -- End function
	.section	.AMDGPU.csdata,"",@progbits
; Kernel info:
; codeLenInByte = 3576
; NumSgprs: 66
; NumVgprs: 69
; ScratchSize: 0
; MemoryBound: 0
; FloatMode: 240
; IeeeMode: 1
; LDSByteSize: 0 bytes/workgroup (compile time only)
; SGPRBlocks: 8
; VGPRBlocks: 8
; NumSGPRsForWavesPerEU: 66
; NumVGPRsForWavesPerEU: 69
; Occupancy: 16
; WaveLimiterHint : 0
; COMPUTE_PGM_RSRC2:SCRATCH_EN: 0
; COMPUTE_PGM_RSRC2:USER_SGPR: 13
; COMPUTE_PGM_RSRC2:TRAP_HANDLER: 0
; COMPUTE_PGM_RSRC2:TGID_X_EN: 1
; COMPUTE_PGM_RSRC2:TGID_Y_EN: 1
; COMPUTE_PGM_RSRC2:TGID_Z_EN: 1
; COMPUTE_PGM_RSRC2:TIDIG_COMP_CNT: 0
	.text
	.p2alignl 7, 3214868480
	.fill 96, 4, 3214868480
	.type	__hip_cuid_348bdfd557dee9cf,@object ; @__hip_cuid_348bdfd557dee9cf
	.section	.bss,"aw",@nobits
	.globl	__hip_cuid_348bdfd557dee9cf
__hip_cuid_348bdfd557dee9cf:
	.byte	0                               ; 0x0
	.size	__hip_cuid_348bdfd557dee9cf, 1

	.ident	"AMD clang version 19.0.0git (https://github.com/RadeonOpenCompute/llvm-project roc-6.4.0 25133 c7fe45cf4b819c5991fe208aaa96edf142730f1d)"
	.section	".note.GNU-stack","",@progbits
	.addrsig
	.addrsig_sym __hip_cuid_348bdfd557dee9cf
	.amdgpu_metadata
---
amdhsa.kernels:
  - .args:
      - .address_space:  global
        .offset:         0
        .size:           8
        .value_kind:     global_buffer
      - .address_space:  global
        .offset:         8
        .size:           8
        .value_kind:     global_buffer
      - .address_space:  global
        .offset:         16
        .size:           8
        .value_kind:     global_buffer
      - .address_space:  global
        .offset:         24
        .size:           8
        .value_kind:     global_buffer
      - .address_space:  global
        .offset:         32
        .size:           8
        .value_kind:     global_buffer
      - .address_space:  global
        .offset:         40
        .size:           8
        .value_kind:     global_buffer
      - .address_space:  global
        .offset:         48
        .size:           8
        .value_kind:     global_buffer
      - .address_space:  global
        .offset:         56
        .size:           8
        .value_kind:     global_buffer
      - .offset:         64
        .size:           8
        .value_kind:     by_value
      - .offset:         72
        .size:           8
        .value_kind:     by_value
      - .offset:         80
        .size:           8
        .value_kind:     by_value
      - .offset:         88
        .size:           8
        .value_kind:     by_value
      - .offset:         96
        .size:           8
        .value_kind:     by_value
      - .offset:         104
        .size:           8
        .value_kind:     by_value
      - .offset:         112
        .size:           1
        .value_kind:     by_value
      - .offset:         120
        .size:           4
        .value_kind:     hidden_block_count_x
      - .offset:         124
        .size:           4
        .value_kind:     hidden_block_count_y
      - .offset:         128
        .size:           4
        .value_kind:     hidden_block_count_z
      - .offset:         132
        .size:           2
        .value_kind:     hidden_group_size_x
      - .offset:         134
        .size:           2
        .value_kind:     hidden_group_size_y
      - .offset:         136
        .size:           2
        .value_kind:     hidden_group_size_z
      - .offset:         138
        .size:           2
        .value_kind:     hidden_remainder_x
      - .offset:         140
        .size:           2
        .value_kind:     hidden_remainder_y
      - .offset:         142
        .size:           2
        .value_kind:     hidden_remainder_z
      - .offset:         160
        .size:           8
        .value_kind:     hidden_global_offset_x
      - .offset:         168
        .size:           8
        .value_kind:     hidden_global_offset_y
      - .offset:         176
        .size:           8
        .value_kind:     hidden_global_offset_z
      - .offset:         184
        .size:           2
        .value_kind:     hidden_grid_dims
    .group_segment_fixed_size: 0
    .kernarg_segment_align: 8
    .kernarg_segment_size: 376
    .language:       OpenCL C
    .language_version:
      - 2
      - 0
    .max_flat_workgroup_size: 1024
    .name:           _Z37convert_vertical_slash_indexes_kernelPKiS0_S0_S0_PiS1_S1_S1_llllllb
    .private_segment_fixed_size: 0
    .sgpr_count:     66
    .sgpr_spill_count: 0
    .symbol:         _Z37convert_vertical_slash_indexes_kernelPKiS0_S0_S0_PiS1_S1_S1_llllllb.kd
    .uniform_work_group_size: 1
    .uses_dynamic_stack: false
    .vgpr_count:     69
    .vgpr_spill_count: 0
    .wavefront_size: 32
    .workgroup_processor_mode: 1
  - .args:
      - .address_space:  global
        .offset:         0
        .size:           8
        .value_kind:     global_buffer
      - .address_space:  global
        .offset:         8
        .size:           8
        .value_kind:     global_buffer
      - .address_space:  global
        .offset:         16
        .size:           8
        .value_kind:     global_buffer
      - .address_space:  global
        .offset:         24
        .size:           8
        .value_kind:     global_buffer
      - .address_space:  global
        .offset:         32
        .size:           8
        .value_kind:     global_buffer
      - .address_space:  global
        .offset:         40
        .size:           8
        .value_kind:     global_buffer
      - .address_space:  global
        .offset:         48
        .size:           8
        .value_kind:     global_buffer
      - .address_space:  global
        .offset:         56
        .size:           8
        .value_kind:     global_buffer
      - .address_space:  global
        .offset:         64
        .size:           8
        .value_kind:     global_buffer
      - .address_space:  global
        .offset:         72
        .size:           8
        .value_kind:     global_buffer
      - .offset:         80
        .size:           8
        .value_kind:     by_value
      - .offset:         88
        .size:           8
        .value_kind:     by_value
      - .offset:         96
        .size:           8
        .value_kind:     by_value
      - .offset:         104
        .size:           8
        .value_kind:     by_value
      - .offset:         112
        .size:           8
        .value_kind:     by_value
      - .offset:         120
        .size:           8
        .value_kind:     by_value
      - .offset:         128
        .size:           1
        .value_kind:     by_value
      - .offset:         136
        .size:           4
        .value_kind:     hidden_block_count_x
      - .offset:         140
        .size:           4
        .value_kind:     hidden_block_count_y
      - .offset:         144
        .size:           4
        .value_kind:     hidden_block_count_z
      - .offset:         148
        .size:           2
        .value_kind:     hidden_group_size_x
      - .offset:         150
        .size:           2
        .value_kind:     hidden_group_size_y
      - .offset:         152
        .size:           2
        .value_kind:     hidden_group_size_z
      - .offset:         154
        .size:           2
        .value_kind:     hidden_remainder_x
      - .offset:         156
        .size:           2
        .value_kind:     hidden_remainder_y
      - .offset:         158
        .size:           2
        .value_kind:     hidden_remainder_z
      - .offset:         176
        .size:           8
        .value_kind:     hidden_global_offset_x
      - .offset:         184
        .size:           8
        .value_kind:     hidden_global_offset_y
      - .offset:         192
        .size:           8
        .value_kind:     hidden_global_offset_z
      - .offset:         200
        .size:           2
        .value_kind:     hidden_grid_dims
    .group_segment_fixed_size: 0
    .kernarg_segment_align: 8
    .kernarg_segment_size: 392
    .language:       OpenCL C
    .language_version:
      - 2
      - 0
    .max_flat_workgroup_size: 1024
    .name:           _Z47convert_vertical_slash_indexes_kernel_mergeheadPKiS0_S0_S0_S0_S0_PiS1_S1_S1_llllllb
    .private_segment_fixed_size: 0
    .sgpr_count:     66
    .sgpr_spill_count: 0
    .symbol:         _Z47convert_vertical_slash_indexes_kernel_mergeheadPKiS0_S0_S0_S0_S0_PiS1_S1_S1_llllllb.kd
    .uniform_work_group_size: 1
    .uses_dynamic_stack: false
    .vgpr_count:     69
    .vgpr_spill_count: 0
    .wavefront_size: 32
    .workgroup_processor_mode: 1
amdhsa.target:   amdgcn-amd-amdhsa--gfx1100
amdhsa.version:
  - 1
  - 2
...

	.end_amdgpu_metadata
